;; amdgpu-corpus repo=ROCm/rocFFT kind=compiled arch=gfx906 opt=O3
	.text
	.amdgcn_target "amdgcn-amd-amdhsa--gfx906"
	.amdhsa_code_object_version 6
	.protected	fft_rtc_back_len945_factors_3_3_3_5_7_wgs_63_tpt_63_halfLds_sp_op_CI_CI_sbrr_dirReg ; -- Begin function fft_rtc_back_len945_factors_3_3_3_5_7_wgs_63_tpt_63_halfLds_sp_op_CI_CI_sbrr_dirReg
	.globl	fft_rtc_back_len945_factors_3_3_3_5_7_wgs_63_tpt_63_halfLds_sp_op_CI_CI_sbrr_dirReg
	.p2align	8
	.type	fft_rtc_back_len945_factors_3_3_3_5_7_wgs_63_tpt_63_halfLds_sp_op_CI_CI_sbrr_dirReg,@function
fft_rtc_back_len945_factors_3_3_3_5_7_wgs_63_tpt_63_halfLds_sp_op_CI_CI_sbrr_dirReg: ; @fft_rtc_back_len945_factors_3_3_3_5_7_wgs_63_tpt_63_halfLds_sp_op_CI_CI_sbrr_dirReg
; %bb.0:
	s_load_dwordx4 s[16:19], s[4:5], 0x18
	s_load_dwordx4 s[8:11], s[4:5], 0x0
	;; [unrolled: 1-line block ×3, first 2 shown]
	v_mul_u32_u24_e32 v1, 0x411, v0
	v_mov_b32_e32 v7, 0
	s_waitcnt lgkmcnt(0)
	s_load_dwordx2 s[20:21], s[16:17], 0x0
	s_load_dwordx2 s[2:3], s[18:19], 0x0
	v_cmp_lt_u64_e64 s[0:1], s[10:11], 2
	v_mov_b32_e32 v5, 0
	v_add_u32_sdwa v9, s6, v1 dst_sel:DWORD dst_unused:UNUSED_PAD src0_sel:DWORD src1_sel:WORD_1
	v_mov_b32_e32 v10, v7
	s_and_b64 vcc, exec, s[0:1]
	v_mov_b32_e32 v6, 0
	s_cbranch_vccnz .LBB0_8
; %bb.1:
	s_load_dwordx2 s[0:1], s[4:5], 0x10
	s_add_u32 s6, s18, 8
	s_addc_u32 s7, s19, 0
	s_add_u32 s22, s16, 8
	s_addc_u32 s23, s17, 0
	v_mov_b32_e32 v5, 0
	s_waitcnt lgkmcnt(0)
	s_add_u32 s24, s0, 8
	v_mov_b32_e32 v6, 0
	v_mov_b32_e32 v1, v5
	s_addc_u32 s25, s1, 0
	s_mov_b64 s[26:27], 1
	v_mov_b32_e32 v2, v6
.LBB0_2:                                ; =>This Inner Loop Header: Depth=1
	s_load_dwordx2 s[28:29], s[24:25], 0x0
                                        ; implicit-def: $vgpr3_vgpr4
	s_waitcnt lgkmcnt(0)
	v_or_b32_e32 v8, s29, v10
	v_cmp_ne_u64_e32 vcc, 0, v[7:8]
	s_and_saveexec_b64 s[0:1], vcc
	s_xor_b64 s[30:31], exec, s[0:1]
	s_cbranch_execz .LBB0_4
; %bb.3:                                ;   in Loop: Header=BB0_2 Depth=1
	v_cvt_f32_u32_e32 v3, s28
	v_cvt_f32_u32_e32 v4, s29
	s_sub_u32 s0, 0, s28
	s_subb_u32 s1, 0, s29
	v_mac_f32_e32 v3, 0x4f800000, v4
	v_rcp_f32_e32 v3, v3
	v_mul_f32_e32 v3, 0x5f7ffffc, v3
	v_mul_f32_e32 v4, 0x2f800000, v3
	v_trunc_f32_e32 v4, v4
	v_mac_f32_e32 v3, 0xcf800000, v4
	v_cvt_u32_f32_e32 v4, v4
	v_cvt_u32_f32_e32 v3, v3
	v_mul_lo_u32 v8, s0, v4
	v_mul_hi_u32 v11, s0, v3
	v_mul_lo_u32 v13, s1, v3
	v_mul_lo_u32 v12, s0, v3
	v_add_u32_e32 v8, v11, v8
	v_add_u32_e32 v8, v8, v13
	v_mul_hi_u32 v11, v3, v12
	v_mul_lo_u32 v13, v3, v8
	v_mul_hi_u32 v15, v3, v8
	v_mul_hi_u32 v14, v4, v12
	v_mul_lo_u32 v12, v4, v12
	v_mul_hi_u32 v16, v4, v8
	v_add_co_u32_e32 v11, vcc, v11, v13
	v_addc_co_u32_e32 v13, vcc, 0, v15, vcc
	v_mul_lo_u32 v8, v4, v8
	v_add_co_u32_e32 v11, vcc, v11, v12
	v_addc_co_u32_e32 v11, vcc, v13, v14, vcc
	v_addc_co_u32_e32 v12, vcc, 0, v16, vcc
	v_add_co_u32_e32 v8, vcc, v11, v8
	v_addc_co_u32_e32 v11, vcc, 0, v12, vcc
	v_add_co_u32_e32 v3, vcc, v3, v8
	v_addc_co_u32_e32 v4, vcc, v4, v11, vcc
	v_mul_lo_u32 v8, s0, v4
	v_mul_hi_u32 v11, s0, v3
	v_mul_lo_u32 v12, s1, v3
	v_mul_lo_u32 v13, s0, v3
	v_add_u32_e32 v8, v11, v8
	v_add_u32_e32 v8, v8, v12
	v_mul_lo_u32 v14, v3, v8
	v_mul_hi_u32 v15, v3, v13
	v_mul_hi_u32 v16, v3, v8
	;; [unrolled: 1-line block ×3, first 2 shown]
	v_mul_lo_u32 v13, v4, v13
	v_mul_hi_u32 v11, v4, v8
	v_add_co_u32_e32 v14, vcc, v15, v14
	v_addc_co_u32_e32 v15, vcc, 0, v16, vcc
	v_mul_lo_u32 v8, v4, v8
	v_add_co_u32_e32 v13, vcc, v14, v13
	v_addc_co_u32_e32 v12, vcc, v15, v12, vcc
	v_addc_co_u32_e32 v11, vcc, 0, v11, vcc
	v_add_co_u32_e32 v8, vcc, v12, v8
	v_addc_co_u32_e32 v11, vcc, 0, v11, vcc
	v_add_co_u32_e32 v8, vcc, v3, v8
	v_addc_co_u32_e32 v11, vcc, v4, v11, vcc
	v_mad_u64_u32 v[3:4], s[0:1], v9, v11, 0
	v_mul_hi_u32 v12, v9, v8
	v_add_co_u32_e32 v13, vcc, v12, v3
	v_addc_co_u32_e32 v14, vcc, 0, v4, vcc
	v_mad_u64_u32 v[3:4], s[0:1], v10, v8, 0
	v_mad_u64_u32 v[11:12], s[0:1], v10, v11, 0
	v_add_co_u32_e32 v3, vcc, v13, v3
	v_addc_co_u32_e32 v3, vcc, v14, v4, vcc
	v_addc_co_u32_e32 v4, vcc, 0, v12, vcc
	v_add_co_u32_e32 v8, vcc, v3, v11
	v_addc_co_u32_e32 v11, vcc, 0, v4, vcc
	v_mul_lo_u32 v12, s29, v8
	v_mul_lo_u32 v13, s28, v11
	v_mad_u64_u32 v[3:4], s[0:1], s28, v8, 0
	v_add3_u32 v4, v4, v13, v12
	v_sub_u32_e32 v12, v10, v4
	v_mov_b32_e32 v13, s29
	v_sub_co_u32_e32 v3, vcc, v9, v3
	v_subb_co_u32_e64 v12, s[0:1], v12, v13, vcc
	v_subrev_co_u32_e64 v13, s[0:1], s28, v3
	v_subbrev_co_u32_e64 v12, s[0:1], 0, v12, s[0:1]
	v_cmp_le_u32_e64 s[0:1], s29, v12
	v_cndmask_b32_e64 v14, 0, -1, s[0:1]
	v_cmp_le_u32_e64 s[0:1], s28, v13
	v_cndmask_b32_e64 v13, 0, -1, s[0:1]
	v_cmp_eq_u32_e64 s[0:1], s29, v12
	v_cndmask_b32_e64 v12, v14, v13, s[0:1]
	v_add_co_u32_e64 v13, s[0:1], 2, v8
	v_addc_co_u32_e64 v14, s[0:1], 0, v11, s[0:1]
	v_add_co_u32_e64 v15, s[0:1], 1, v8
	v_addc_co_u32_e64 v16, s[0:1], 0, v11, s[0:1]
	v_subb_co_u32_e32 v4, vcc, v10, v4, vcc
	v_cmp_ne_u32_e64 s[0:1], 0, v12
	v_cmp_le_u32_e32 vcc, s29, v4
	v_cndmask_b32_e64 v12, v16, v14, s[0:1]
	v_cndmask_b32_e64 v14, 0, -1, vcc
	v_cmp_le_u32_e32 vcc, s28, v3
	v_cndmask_b32_e64 v3, 0, -1, vcc
	v_cmp_eq_u32_e32 vcc, s29, v4
	v_cndmask_b32_e32 v3, v14, v3, vcc
	v_cmp_ne_u32_e32 vcc, 0, v3
	v_cndmask_b32_e64 v3, v15, v13, s[0:1]
	v_cndmask_b32_e32 v4, v11, v12, vcc
	v_cndmask_b32_e32 v3, v8, v3, vcc
.LBB0_4:                                ;   in Loop: Header=BB0_2 Depth=1
	s_andn2_saveexec_b64 s[0:1], s[30:31]
	s_cbranch_execz .LBB0_6
; %bb.5:                                ;   in Loop: Header=BB0_2 Depth=1
	v_cvt_f32_u32_e32 v3, s28
	s_sub_i32 s30, 0, s28
	v_rcp_iflag_f32_e32 v3, v3
	v_mul_f32_e32 v3, 0x4f7ffffe, v3
	v_cvt_u32_f32_e32 v3, v3
	v_mul_lo_u32 v4, s30, v3
	v_mul_hi_u32 v4, v3, v4
	v_add_u32_e32 v3, v3, v4
	v_mul_hi_u32 v3, v9, v3
	v_mul_lo_u32 v4, v3, s28
	v_add_u32_e32 v8, 1, v3
	v_sub_u32_e32 v4, v9, v4
	v_subrev_u32_e32 v11, s28, v4
	v_cmp_le_u32_e32 vcc, s28, v4
	v_cndmask_b32_e32 v4, v4, v11, vcc
	v_cndmask_b32_e32 v3, v3, v8, vcc
	v_add_u32_e32 v8, 1, v3
	v_cmp_le_u32_e32 vcc, s28, v4
	v_cndmask_b32_e32 v3, v3, v8, vcc
	v_mov_b32_e32 v4, v7
.LBB0_6:                                ;   in Loop: Header=BB0_2 Depth=1
	s_or_b64 exec, exec, s[0:1]
	v_mul_lo_u32 v8, v4, s28
	v_mul_lo_u32 v13, v3, s29
	v_mad_u64_u32 v[11:12], s[0:1], v3, s28, 0
	s_load_dwordx2 s[0:1], s[22:23], 0x0
	s_load_dwordx2 s[28:29], s[6:7], 0x0
	v_add3_u32 v8, v12, v13, v8
	v_sub_co_u32_e32 v9, vcc, v9, v11
	v_subb_co_u32_e32 v8, vcc, v10, v8, vcc
	s_waitcnt lgkmcnt(0)
	v_mul_lo_u32 v10, s0, v8
	v_mul_lo_u32 v11, s1, v9
	v_mad_u64_u32 v[5:6], s[0:1], s0, v9, v[5:6]
	v_mul_lo_u32 v8, s28, v8
	v_mul_lo_u32 v12, s29, v9
	v_mad_u64_u32 v[1:2], s[0:1], s28, v9, v[1:2]
	s_add_u32 s26, s26, 1
	s_addc_u32 s27, s27, 0
	s_add_u32 s6, s6, 8
	v_add3_u32 v2, v12, v2, v8
	s_addc_u32 s7, s7, 0
	v_mov_b32_e32 v8, s10
	s_add_u32 s22, s22, 8
	v_mov_b32_e32 v9, s11
	s_addc_u32 s23, s23, 0
	v_cmp_ge_u64_e32 vcc, s[26:27], v[8:9]
	s_add_u32 s24, s24, 8
	v_add3_u32 v6, v11, v6, v10
	s_addc_u32 s25, s25, 0
	s_cbranch_vccnz .LBB0_9
; %bb.7:                                ;   in Loop: Header=BB0_2 Depth=1
	v_mov_b32_e32 v10, v4
	v_mov_b32_e32 v9, v3
	s_branch .LBB0_2
.LBB0_8:
	v_mov_b32_e32 v1, v5
	v_mov_b32_e32 v3, v9
	;; [unrolled: 1-line block ×4, first 2 shown]
.LBB0_9:
	s_load_dwordx2 s[0:1], s[4:5], 0x28
	s_lshl_b64 s[10:11], s[10:11], 3
	s_add_u32 s4, s18, s10
	s_addc_u32 s5, s19, s11
                                        ; implicit-def: $vgpr43
                                        ; implicit-def: $vgpr45
                                        ; implicit-def: $vgpr44
                                        ; implicit-def: $vgpr37
                                        ; implicit-def: $vgpr38
	s_waitcnt lgkmcnt(0)
	v_cmp_gt_u64_e32 vcc, s[0:1], v[3:4]
	v_cmp_le_u64_e64 s[0:1], s[0:1], v[3:4]
	s_and_saveexec_b64 s[6:7], s[0:1]
	s_xor_b64 s[0:1], exec, s[6:7]
; %bb.10:
	s_mov_b32 s6, 0x4104105
	v_mul_hi_u32 v5, v0, s6
	v_mul_u32_u24_e32 v5, 63, v5
	v_sub_u32_e32 v43, v0, v5
	v_add_u32_e32 v45, 63, v43
	v_add_u32_e32 v44, 0x7e, v43
	;; [unrolled: 1-line block ×4, first 2 shown]
                                        ; implicit-def: $vgpr0
                                        ; implicit-def: $vgpr5_vgpr6
; %bb.11:
	s_or_saveexec_b64 s[6:7], s[0:1]
                                        ; implicit-def: $vgpr15
                                        ; implicit-def: $vgpr33
                                        ; implicit-def: $vgpr35
                                        ; implicit-def: $vgpr17
                                        ; implicit-def: $vgpr19
                                        ; implicit-def: $vgpr21
                                        ; implicit-def: $vgpr7
                                        ; implicit-def: $vgpr23
                                        ; implicit-def: $vgpr27
                                        ; implicit-def: $vgpr25
                                        ; implicit-def: $vgpr11
                                        ; implicit-def: $vgpr29
                                        ; implicit-def: $vgpr9
                                        ; implicit-def: $vgpr31
                                        ; implicit-def: $vgpr13
	s_xor_b64 exec, exec, s[6:7]
	s_cbranch_execz .LBB0_13
; %bb.12:
	s_add_u32 s0, s16, s10
	s_mov_b32 s10, 0x4104105
	v_mul_hi_u32 v7, v0, s10
	s_addc_u32 s1, s17, s11
	s_load_dwordx2 s[0:1], s[0:1], 0x0
	v_lshlrev_b64 v[5:6], 3, v[5:6]
	v_mul_u32_u24_e32 v7, 63, v7
	v_sub_u32_e32 v43, v0, v7
	v_mad_u64_u32 v[7:8], s[10:11], s20, v43, 0
	s_waitcnt lgkmcnt(0)
	v_mul_lo_u32 v13, s1, v3
	v_mul_lo_u32 v14, s0, v4
	v_mad_u64_u32 v[9:10], s[0:1], s0, v3, 0
	v_mov_b32_e32 v0, v8
	v_mad_u64_u32 v[11:12], s[0:1], s21, v43, v[0:1]
	v_add3_u32 v10, v10, v14, v13
	v_lshlrev_b64 v[9:10], 3, v[9:10]
	v_mov_b32_e32 v8, v11
	v_mov_b32_e32 v0, s13
	v_add_co_u32_e64 v11, s[0:1], s12, v9
	v_add_u32_e32 v12, 0x13b, v43
	v_addc_co_u32_e64 v0, s[0:1], v0, v10, s[0:1]
	v_mad_u64_u32 v[9:10], s[0:1], s20, v12, 0
	v_add_co_u32_e64 v13, s[0:1], v11, v5
	v_addc_co_u32_e64 v14, s[0:1], v0, v6, s[0:1]
	v_mov_b32_e32 v0, v10
	v_lshlrev_b64 v[5:6], 3, v[7:8]
	v_mad_u64_u32 v[7:8], s[0:1], s21, v12, v[0:1]
	v_add_u32_e32 v8, 0x276, v43
	v_mad_u64_u32 v[11:12], s[0:1], s20, v8, 0
	v_add_co_u32_e64 v39, s[0:1], v13, v5
	v_mov_b32_e32 v0, v12
	v_addc_co_u32_e64 v40, s[0:1], v14, v6, s[0:1]
	v_mov_b32_e32 v10, v7
	v_mad_u64_u32 v[7:8], s[0:1], s21, v8, v[0:1]
	v_add_u32_e32 v45, 63, v43
	v_lshlrev_b64 v[5:6], 3, v[9:10]
	v_mad_u64_u32 v[8:9], s[0:1], s20, v45, 0
	v_add_co_u32_e64 v41, s[0:1], v13, v5
	v_mov_b32_e32 v0, v9
	v_addc_co_u32_e64 v42, s[0:1], v14, v6, s[0:1]
	v_mov_b32_e32 v12, v7
	v_mad_u64_u32 v[9:10], s[0:1], s21, v45, v[0:1]
	v_add_u32_e32 v7, 0x17a, v43
	v_lshlrev_b64 v[5:6], 3, v[11:12]
	v_mad_u64_u32 v[10:11], s[0:1], s20, v7, 0
	v_add_co_u32_e64 v46, s[0:1], v13, v5
	v_mov_b32_e32 v0, v11
	v_addc_co_u32_e64 v47, s[0:1], v14, v6, s[0:1]
	v_lshlrev_b64 v[5:6], 3, v[8:9]
	v_mad_u64_u32 v[7:8], s[0:1], s21, v7, v[0:1]
	v_add_u32_e32 v12, 0x2b5, v43
	v_mad_u64_u32 v[8:9], s[0:1], s20, v12, 0
	v_add_co_u32_e64 v48, s[0:1], v13, v5
	v_mov_b32_e32 v11, v7
	v_mov_b32_e32 v0, v9
	v_addc_co_u32_e64 v49, s[0:1], v14, v6, s[0:1]
	v_lshlrev_b64 v[5:6], 3, v[10:11]
	v_mad_u64_u32 v[9:10], s[0:1], s21, v12, v[0:1]
	v_add_u32_e32 v44, 0x7e, v43
	v_mad_u64_u32 v[10:11], s[0:1], s20, v44, 0
	v_add_co_u32_e64 v50, s[0:1], v13, v5
	v_mov_b32_e32 v0, v11
	v_addc_co_u32_e64 v51, s[0:1], v14, v6, s[0:1]
	v_lshlrev_b64 v[5:6], 3, v[8:9]
	v_mad_u64_u32 v[7:8], s[0:1], s21, v44, v[0:1]
	v_add_u32_e32 v12, 0x1b9, v43
	v_mad_u64_u32 v[8:9], s[0:1], s20, v12, 0
	v_add_co_u32_e64 v52, s[0:1], v13, v5
	v_mov_b32_e32 v11, v7
	v_mov_b32_e32 v0, v9
	v_addc_co_u32_e64 v53, s[0:1], v14, v6, s[0:1]
	v_lshlrev_b64 v[5:6], 3, v[10:11]
	v_mad_u64_u32 v[9:10], s[0:1], s21, v12, v[0:1]
	v_add_u32_e32 v7, 0x2f4, v43
	;; [unrolled: 15-line block ×5, first 2 shown]
	v_mad_u64_u32 v[10:11], s[0:1], s20, v7, 0
	v_add_co_u32_e64 v66, s[0:1], v13, v5
	v_mov_b32_e32 v0, v11
	v_addc_co_u32_e64 v67, s[0:1], v14, v6, s[0:1]
	v_lshlrev_b64 v[5:6], 3, v[8:9]
	v_mad_u64_u32 v[7:8], s[0:1], s21, v7, v[0:1]
	v_add_co_u32_e64 v68, s[0:1], v13, v5
	v_mov_b32_e32 v11, v7
	v_addc_co_u32_e64 v69, s[0:1], v14, v6, s[0:1]
	v_lshlrev_b64 v[5:6], 3, v[10:11]
	v_add_co_u32_e64 v70, s[0:1], v13, v5
	v_addc_co_u32_e64 v71, s[0:1], v14, v6, s[0:1]
	global_load_dwordx2 v[14:15], v[39:40], off
	global_load_dwordx2 v[32:33], v[41:42], off
	;; [unrolled: 1-line block ×15, first 2 shown]
.LBB0_13:
	s_or_b64 exec, exec, s[6:7]
	s_waitcnt vmcnt(12)
	v_add_f32_e32 v5, v32, v34
	v_add_f32_e32 v0, v14, v32
	v_fmac_f32_e32 v14, -0.5, v5
	v_sub_f32_e32 v5, v33, v35
	v_mov_b32_e32 v36, v14
	v_fmac_f32_e32 v36, 0xbf5db3d7, v5
	v_fmac_f32_e32 v14, 0x3f5db3d7, v5
	v_add_f32_e32 v5, v15, v33
	v_add_f32_e32 v39, v5, v35
	;; [unrolled: 1-line block ×3, first 2 shown]
	v_sub_f32_e32 v40, v32, v34
	s_waitcnt vmcnt(9)
	v_add_f32_e32 v32, v16, v30
	v_fmac_f32_e32 v15, -0.5, v5
	v_add_f32_e32 v5, v16, v12
	v_fmac_f32_e32 v12, -0.5, v32
	v_add_f32_e32 v0, v0, v34
	v_sub_f32_e32 v32, v17, v31
	v_mov_b32_e32 v33, v12
	s_waitcnt vmcnt(6)
	v_add_f32_e32 v34, v18, v20
	v_fmac_f32_e32 v33, 0xbf5db3d7, v32
	v_fmac_f32_e32 v12, 0x3f5db3d7, v32
	v_add_f32_e32 v32, v18, v8
	v_fmac_f32_e32 v8, -0.5, v34
	v_sub_f32_e32 v34, v19, v21
	v_mov_b32_e32 v35, v8
	s_waitcnt vmcnt(3)
	v_add_f32_e32 v42, v22, v28
	v_fmac_f32_e32 v35, 0xbf5db3d7, v34
	v_fmac_f32_e32 v8, 0x3f5db3d7, v34
	v_add_f32_e32 v34, v6, v28
	v_fmac_f32_e32 v6, -0.5, v42
	v_mad_u32_u24 v56, v43, 12, 0
	v_add_f32_e32 v5, v30, v5
	v_sub_f32_e32 v42, v29, v23
	v_mov_b32_e32 v46, v6
	s_waitcnt vmcnt(0)
	v_add_f32_e32 v47, v26, v24
	ds_write_b32 v56, v14 offset:8
	v_mad_i32_i24 v14, v45, 12, 0
	s_load_dwordx2 s[4:5], s[4:5], 0x0
	v_add_f32_e32 v32, v20, v32
	v_add_f32_e32 v34, v22, v34
	v_fmac_f32_e32 v46, 0xbf5db3d7, v42
	v_fmac_f32_e32 v6, 0x3f5db3d7, v42
	v_add_f32_e32 v42, v24, v10
	v_fmac_f32_e32 v10, -0.5, v47
	ds_write2_b32 v56, v0, v36 offset1:1
	ds_write2_b32 v14, v5, v33 offset1:1
	ds_write_b32 v14, v12 offset:8
	v_mad_i32_i24 v5, v44, 12, 0
	v_mad_i32_i24 v57, v37, 12, 0
	v_sub_f32_e32 v0, v25, v27
	v_mov_b32_e32 v36, v10
	ds_write2_b32 v5, v32, v35 offset1:1
	ds_write_b32 v5, v8 offset:8
	ds_write2_b32 v57, v34, v46 offset1:1
	ds_write_b32 v57, v6 offset:8
	v_lshlrev_b32_e32 v6, 3, v37
	v_fmac_f32_e32 v36, 0xbf5db3d7, v0
	v_fmac_f32_e32 v10, 0x3f5db3d7, v0
	v_mad_i32_i24 v58, v38, 12, 0
	v_lshlrev_b32_e32 v0, 3, v43
	v_sub_u32_e32 v33, v57, v6
	v_lshlrev_b32_e32 v6, 3, v38
	v_mov_b32_e32 v41, v15
	v_add_f32_e32 v42, v26, v42
	v_sub_u32_e32 v0, v56, v0
	v_sub_u32_e32 v34, v58, v6
	v_lshlrev_b32_e32 v6, 3, v45
	v_lshlrev_b32_e32 v8, 3, v44
	v_fmac_f32_e32 v15, 0xbf5db3d7, v40
	ds_write2_b32 v58, v42, v36 offset1:1
	ds_write_b32 v58, v10 offset:8
	s_waitcnt lgkmcnt(0)
	; wave barrier
	s_waitcnt lgkmcnt(0)
	v_add_u32_e32 v35, 0x400, v0
	v_add_u32_e32 v36, 0x800, v0
	v_sub_u32_e32 v10, v14, v6
	v_sub_u32_e32 v12, v5, v8
	v_add_u32_e32 v32, 0xc00, v0
	ds_read_b32 v60, v0
	ds_read_b32 v61, v10
	;; [unrolled: 1-line block ×5, first 2 shown]
	ds_read2_b32 v[46:47], v35 offset0:59 offset1:122
	ds_read2_b32 v[48:49], v36 offset0:55 offset1:118
	;; [unrolled: 1-line block ×5, first 2 shown]
	s_waitcnt lgkmcnt(0)
	; wave barrier
	s_waitcnt lgkmcnt(0)
	ds_write_b32 v56, v15 offset:8
	v_add_f32_e32 v15, v17, v13
	v_add_f32_e32 v17, v17, v31
	v_sub_f32_e32 v16, v16, v30
	v_add_f32_e32 v30, v19, v9
	v_add_f32_e32 v19, v19, v21
	v_fmac_f32_e32 v13, -0.5, v17
	v_fmac_f32_e32 v41, 0x3f5db3d7, v40
	v_sub_f32_e32 v18, v18, v20
	v_add_f32_e32 v20, v21, v30
	v_add_f32_e32 v21, v7, v29
	v_mov_b32_e32 v17, v13
	v_fmac_f32_e32 v13, 0xbf5db3d7, v16
	v_fmac_f32_e32 v9, -0.5, v19
	ds_write2_b32 v56, v39, v41 offset1:1
	v_add_f32_e32 v29, v23, v29
	v_add_f32_e32 v21, v23, v21
	;; [unrolled: 1-line block ×4, first 2 shown]
	ds_write_b32 v14, v13 offset:8
	v_mov_b32_e32 v13, v9
	v_add_f32_e32 v15, v31, v15
	v_sub_f32_e32 v22, v28, v22
	v_fmac_f32_e32 v17, 0x3f5db3d7, v16
	v_fmac_f32_e32 v13, 0x3f5db3d7, v18
	v_fmac_f32_e32 v7, -0.5, v29
	v_fmac_f32_e32 v11, -0.5, v25
	v_sub_f32_e32 v24, v24, v26
	ds_write2_b32 v14, v15, v17 offset1:1
	ds_write2_b32 v5, v20, v13 offset1:1
	v_fmac_f32_e32 v9, 0xbf5db3d7, v18
	v_mov_b32_e32 v13, v7
	v_fmac_f32_e32 v7, 0xbf5db3d7, v22
	v_mov_b32_e32 v15, v11
	s_movk_i32 s0, 0xab
	v_add_f32_e32 v23, v27, v23
	v_fmac_f32_e32 v13, 0x3f5db3d7, v22
	v_fmac_f32_e32 v15, 0x3f5db3d7, v24
	;; [unrolled: 1-line block ×3, first 2 shown]
	ds_write_b32 v5, v9 offset:8
	ds_write2_b32 v57, v21, v13 offset1:1
	ds_write_b32 v57, v7 offset:8
	ds_write2_b32 v58, v23, v15 offset1:1
	ds_write_b32 v58, v11 offset:8
	v_mul_lo_u16_sdwa v7, v43, s0 dst_sel:DWORD dst_unused:UNUSED_PAD src0_sel:BYTE_0 src1_sel:DWORD
	v_lshrrev_b16_e32 v7, 9, v7
	v_mul_lo_u16_sdwa v23, v44, s0 dst_sel:DWORD dst_unused:UNUSED_PAD src0_sel:BYTE_0 src1_sel:DWORD
	v_mul_lo_u16_e32 v9, 3, v7
	v_lshrrev_b16_e32 v65, 9, v23
	v_sub_u16_e32 v11, v43, v9
	v_mov_b32_e32 v9, 4
	v_mul_lo_u16_e32 v23, 3, v65
	v_lshlrev_b32_sdwa v13, v9, v11 dst_sel:DWORD dst_unused:UNUSED_PAD src0_sel:DWORD src1_sel:BYTE_0
	v_sub_u16_e32 v66, v44, v23
	s_waitcnt lgkmcnt(0)
	; wave barrier
	s_waitcnt lgkmcnt(0)
	global_load_dwordx4 v[15:18], v13, s[8:9]
	v_lshlrev_b32_sdwa v23, v9, v66 dst_sel:DWORD dst_unused:UNUSED_PAD src0_sel:DWORD src1_sel:BYTE_0
	global_load_dwordx4 v[23:26], v23, s[8:9]
	v_mul_lo_u16_sdwa v13, v45, s0 dst_sel:DWORD dst_unused:UNUSED_PAD src0_sel:BYTE_0 src1_sel:DWORD
	v_lshrrev_b16_e32 v13, 9, v13
	v_mul_lo_u16_e32 v19, 3, v13
	v_sub_u16_e32 v31, v45, v19
	v_lshlrev_b32_sdwa v19, v9, v31 dst_sel:DWORD dst_unused:UNUSED_PAD src0_sel:DWORD src1_sel:BYTE_0
	global_load_dwordx4 v[19:22], v19, s[8:9]
	v_mul_lo_u16_sdwa v27, v37, s0 dst_sel:DWORD dst_unused:UNUSED_PAD src0_sel:BYTE_0 src1_sel:DWORD
	v_lshrrev_b16_e32 v67, 9, v27
	s_mov_b32 s0, 0xaaab
	v_mul_lo_u16_e32 v27, 3, v67
	v_mul_u32_u24_sdwa v39, v38, s0 dst_sel:DWORD dst_unused:UNUSED_PAD src0_sel:WORD_0 src1_sel:DWORD
	v_sub_u16_e32 v68, v37, v27
	v_lshrrev_b32_e32 v69, 17, v39
	v_lshlrev_b32_sdwa v27, v9, v68 dst_sel:DWORD dst_unused:UNUSED_PAD src0_sel:DWORD src1_sel:BYTE_0
	global_load_dwordx4 v[27:30], v27, s[8:9]
	v_mul_lo_u16_e32 v39, 3, v69
	v_sub_u16_e32 v70, v38, v39
	v_lshlrev_b32_e32 v39, 4, v70
	global_load_dwordx4 v[39:42], v39, s[8:9]
	ds_read2_b32 v[56:57], v35 offset0:59 offset1:122
	ds_read2_b32 v[58:59], v36 offset0:55 offset1:118
	v_mul_u32_u24_e32 v13, 36, v13
	s_mov_b32 s0, 0xe38f
	s_waitcnt vmcnt(4) lgkmcnt(1)
	v_mul_f32_e32 v71, v56, v16
	v_mul_f32_e32 v16, v46, v16
	v_fmac_f32_e32 v71, v46, v15
	v_fma_f32 v46, v56, v15, -v16
	s_waitcnt lgkmcnt(0)
	v_mul_f32_e32 v56, v59, v18
	v_mul_f32_e32 v15, v49, v18
	v_fmac_f32_e32 v56, v49, v17
	v_fma_f32 v49, v59, v17, -v15
	ds_read2_b32 v[15:16], v36 offset0:181 offset1:244
	s_waitcnt vmcnt(2)
	v_mul_f32_e32 v59, v57, v20
	v_mul_f32_e32 v17, v47, v20
	v_fmac_f32_e32 v59, v47, v19
	v_fma_f32 v19, v57, v19, -v17
	s_waitcnt lgkmcnt(0)
	v_mul_f32_e32 v20, v15, v22
	v_mul_f32_e32 v17, v50, v22
	v_fmac_f32_e32 v20, v50, v21
	v_fma_f32 v21, v15, v21, -v17
	ds_read2_b32 v[17:18], v35 offset0:185 offset1:248
	v_mul_f32_e32 v22, v16, v26
	v_mul_f32_e32 v15, v51, v26
	v_fmac_f32_e32 v22, v51, v25
	v_fma_f32 v25, v16, v25, -v15
	v_mul_f32_e32 v15, v52, v24
	s_waitcnt lgkmcnt(0)
	v_mul_f32_e32 v26, v17, v24
	v_fma_f32 v17, v17, v23, -v15
	ds_read2_b32 v[15:16], v32 offset0:51 offset1:114
	v_fmac_f32_e32 v26, v52, v23
	s_waitcnt vmcnt(1)
	v_mul_f32_e32 v23, v18, v28
	v_mul_f32_e32 v24, v53, v28
	v_fmac_f32_e32 v23, v53, v27
	v_fma_f32 v18, v18, v27, -v24
	v_mul_f32_e32 v27, v54, v30
	s_waitcnt lgkmcnt(0)
	v_mul_f32_e32 v24, v15, v30
	v_fma_f32 v15, v15, v29, -v27
	s_waitcnt vmcnt(0)
	v_mul_f32_e32 v27, v58, v40
	v_mul_f32_e32 v28, v48, v40
	v_fmac_f32_e32 v27, v48, v39
	v_fma_f32 v28, v58, v39, -v28
	v_mul_f32_e32 v30, v55, v42
	v_add_f32_e32 v39, v71, v56
	v_fmac_f32_e32 v24, v54, v29
	v_mul_f32_e32 v29, v16, v42
	v_fma_f32 v16, v16, v41, -v30
	v_add_f32_e32 v30, v60, v71
	v_fmac_f32_e32 v60, -0.5, v39
	v_mul_u32_u24_e32 v39, 36, v7
	v_mov_b32_e32 v7, 2
	v_lshlrev_b32_sdwa v11, v7, v11 dst_sel:DWORD dst_unused:UNUSED_PAD src0_sel:DWORD src1_sel:BYTE_0
	v_add3_u32 v11, 0, v39, v11
	v_sub_f32_e32 v39, v46, v49
	v_mov_b32_e32 v40, v60
	v_add_f32_e32 v30, v30, v56
	v_fmac_f32_e32 v40, 0xbf5db3d7, v39
	v_fmac_f32_e32 v60, 0x3f5db3d7, v39
	v_add_f32_e32 v39, v59, v20
	v_fmac_f32_e32 v29, v55, v41
	ds_read_b32 v54, v0
	ds_read_b32 v55, v10
	;; [unrolled: 1-line block ×5, first 2 shown]
	s_waitcnt lgkmcnt(0)
	; wave barrier
	s_waitcnt lgkmcnt(0)
	ds_write2_b32 v11, v30, v40 offset1:3
	v_add_f32_e32 v30, v61, v59
	v_fmac_f32_e32 v61, -0.5, v39
	v_lshlrev_b32_sdwa v31, v7, v31 dst_sel:DWORD dst_unused:UNUSED_PAD src0_sel:DWORD src1_sel:BYTE_0
	v_add3_u32 v13, 0, v13, v31
	v_sub_f32_e32 v31, v19, v21
	v_mov_b32_e32 v39, v61
	v_add_f32_e32 v30, v30, v20
	v_fmac_f32_e32 v39, 0xbf5db3d7, v31
	v_fmac_f32_e32 v61, 0x3f5db3d7, v31
	v_add_f32_e32 v31, v26, v22
	ds_write_b32 v11, v60 offset:24
	ds_write2_b32 v13, v30, v39 offset1:3
	v_add_f32_e32 v30, v62, v26
	v_fmac_f32_e32 v62, -0.5, v31
	v_mul_u32_u24_e32 v31, 36, v65
	v_lshlrev_b32_sdwa v39, v7, v66 dst_sel:DWORD dst_unused:UNUSED_PAD src0_sel:DWORD src1_sel:BYTE_0
	v_add3_u32 v31, 0, v31, v39
	v_sub_f32_e32 v39, v17, v25
	v_mov_b32_e32 v40, v62
	v_add_f32_e32 v30, v30, v22
	v_fmac_f32_e32 v40, 0xbf5db3d7, v39
	v_fmac_f32_e32 v62, 0x3f5db3d7, v39
	v_add_f32_e32 v39, v23, v24
	ds_write_b32 v13, v61 offset:24
	ds_write2_b32 v31, v30, v40 offset1:3
	v_add_f32_e32 v30, v63, v23
	v_fmac_f32_e32 v63, -0.5, v39
	v_mul_u32_u24_e32 v39, 36, v67
	;; [unrolled: 13-line block ×3, first 2 shown]
	v_lshlrev_b32_e32 v41, 2, v70
	v_add3_u32 v40, 0, v40, v41
	v_sub_f32_e32 v41, v28, v16
	v_mov_b32_e32 v42, v64
	v_add_f32_e32 v30, v30, v29
	v_fmac_f32_e32 v42, 0xbf5db3d7, v41
	ds_write_b32 v39, v63 offset:24
	ds_write2_b32 v40, v30, v42 offset1:3
	v_add_f32_e32 v42, v46, v49
	v_add_f32_e32 v30, v54, v46
	v_fmac_f32_e32 v54, -0.5, v42
	v_sub_f32_e32 v56, v71, v56
	v_mov_b32_e32 v60, v54
	v_add_f32_e32 v30, v30, v49
	v_fmac_f32_e32 v64, 0x3f5db3d7, v41
	v_fmac_f32_e32 v60, 0x3f5db3d7, v56
	;; [unrolled: 1-line block ×3, first 2 shown]
	ds_write_b32 v40, v64 offset:24
	s_waitcnt lgkmcnt(0)
	; wave barrier
	s_waitcnt lgkmcnt(0)
	ds_read_b32 v61, v0
	ds_read_b32 v62, v10
	;; [unrolled: 1-line block ×5, first 2 shown]
	ds_read2_b32 v[41:42], v35 offset0:59 offset1:122
	ds_read2_b32 v[46:47], v36 offset0:55 offset1:118
	;; [unrolled: 1-line block ×5, first 2 shown]
	s_waitcnt lgkmcnt(0)
	; wave barrier
	s_waitcnt lgkmcnt(0)
	ds_write2_b32 v11, v30, v60 offset1:3
	ds_write_b32 v11, v54 offset:24
	v_add_f32_e32 v11, v55, v19
	v_add_f32_e32 v19, v19, v21
	v_fmac_f32_e32 v55, -0.5, v19
	v_sub_f32_e32 v19, v59, v20
	v_mov_b32_e32 v20, v55
	v_add_f32_e32 v11, v11, v21
	v_fmac_f32_e32 v20, 0x3f5db3d7, v19
	v_fmac_f32_e32 v55, 0xbf5db3d7, v19
	ds_write2_b32 v13, v11, v20 offset1:3
	ds_write_b32 v13, v55 offset:24
	v_add_f32_e32 v13, v17, v25
	v_add_f32_e32 v11, v57, v17
	v_fmac_f32_e32 v57, -0.5, v13
	v_sub_f32_e32 v13, v26, v22
	v_mov_b32_e32 v17, v57
	v_add_f32_e32 v11, v11, v25
	v_fmac_f32_e32 v17, 0x3f5db3d7, v13
	v_fmac_f32_e32 v57, 0xbf5db3d7, v13
	v_add_f32_e32 v13, v18, v15
	ds_write2_b32 v31, v11, v17 offset1:3
	v_add_f32_e32 v11, v58, v18
	v_fmac_f32_e32 v58, -0.5, v13
	v_add_f32_e32 v11, v11, v15
	v_sub_f32_e32 v13, v23, v24
	v_mov_b32_e32 v15, v58
	v_fmac_f32_e32 v15, 0x3f5db3d7, v13
	v_fmac_f32_e32 v58, 0xbf5db3d7, v13
	v_add_f32_e32 v13, v72, v28
	v_add_f32_e32 v13, v13, v16
	;; [unrolled: 1-line block ×3, first 2 shown]
	v_fmac_f32_e32 v72, -0.5, v16
	v_sub_f32_e32 v16, v27, v29
	v_mov_b32_e32 v17, v72
	v_fmac_f32_e32 v17, 0x3f5db3d7, v16
	v_fmac_f32_e32 v72, 0xbf5db3d7, v16
	ds_write_b32 v31, v57 offset:24
	ds_write2_b32 v39, v11, v15 offset1:3
	ds_write_b32 v39, v58 offset:24
	ds_write2_b32 v40, v13, v17 offset1:3
	ds_write_b32 v40, v72 offset:24
	v_mov_b32_e32 v11, 57
	v_mul_lo_u16_sdwa v13, v43, v11 dst_sel:DWORD dst_unused:UNUSED_PAD src0_sel:BYTE_0 src1_sel:DWORD
	v_lshrrev_b16_e32 v13, 9, v13
	v_mul_lo_u16_e32 v15, 9, v13
	v_sub_u16_e32 v31, v43, v15
	v_lshlrev_b32_sdwa v15, v9, v31 dst_sel:DWORD dst_unused:UNUSED_PAD src0_sel:DWORD src1_sel:BYTE_0
	s_waitcnt lgkmcnt(0)
	; wave barrier
	s_waitcnt lgkmcnt(0)
	global_load_dwordx4 v[15:18], v15, s[8:9] offset:48
	v_mul_lo_u16_sdwa v19, v45, v11 dst_sel:DWORD dst_unused:UNUSED_PAD src0_sel:BYTE_0 src1_sel:DWORD
	v_lshrrev_b16_e32 v58, 9, v19
	v_mul_lo_u16_e32 v19, 9, v58
	v_sub_u16_e32 v59, v45, v19
	v_lshlrev_b32_sdwa v19, v9, v59 dst_sel:DWORD dst_unused:UNUSED_PAD src0_sel:DWORD src1_sel:BYTE_0
	global_load_dwordx4 v[19:22], v19, s[8:9] offset:48
	v_mul_lo_u16_sdwa v23, v44, v11 dst_sel:DWORD dst_unused:UNUSED_PAD src0_sel:BYTE_0 src1_sel:DWORD
	v_lshrrev_b16_e32 v60, 9, v23
	v_mul_lo_u16_e32 v23, 9, v60
	v_mul_lo_u16_sdwa v11, v37, v11 dst_sel:DWORD dst_unused:UNUSED_PAD src0_sel:BYTE_0 src1_sel:DWORD
	v_sub_u16_e32 v66, v44, v23
	v_lshrrev_b16_e32 v11, 9, v11
	v_lshlrev_b32_sdwa v23, v9, v66 dst_sel:DWORD dst_unused:UNUSED_PAD src0_sel:DWORD src1_sel:BYTE_0
	global_load_dwordx4 v[23:26], v23, s[8:9] offset:48
	v_mul_lo_u16_e32 v27, 9, v11
	v_sub_u16_e32 v67, v37, v27
	v_lshlrev_b32_sdwa v9, v9, v67 dst_sel:DWORD dst_unused:UNUSED_PAD src0_sel:DWORD src1_sel:BYTE_0
	global_load_dwordx4 v[27:30], v9, s[8:9] offset:48
	v_mul_u32_u24_sdwa v9, v38, s0 dst_sel:DWORD dst_unused:UNUSED_PAD src0_sel:WORD_0 src1_sel:DWORD
	v_lshrrev_b32_e32 v9, 19, v9
	v_mul_lo_u16_e32 v37, 9, v9
	v_sub_u16_e32 v68, v38, v37
	v_lshlrev_b32_e32 v37, 4, v68
	global_load_dwordx4 v[37:40], v37, s[8:9] offset:48
	ds_read2_b32 v[54:55], v35 offset0:59 offset1:122
	ds_read2_b32 v[56:57], v36 offset0:55 offset1:118
	v_mul_u32_u24_e32 v13, 0x6c, v13
	v_lshlrev_b32_sdwa v31, v7, v31 dst_sel:DWORD dst_unused:UNUSED_PAD src0_sel:DWORD src1_sel:BYTE_0
	v_add3_u32 v13, 0, v13, v31
	v_mul_u32_u24_e32 v11, 0x6c, v11
	v_mul_u32_u24_e32 v9, 0x6c, v9
	v_cmp_gt_u32_e64 s[0:1], 9, v43
	s_waitcnt vmcnt(4) lgkmcnt(1)
	v_mul_f32_e32 v69, v54, v16
	v_mul_f32_e32 v16, v41, v16
	v_fmac_f32_e32 v69, v41, v15
	v_fma_f32 v41, v54, v15, -v16
	s_waitcnt lgkmcnt(0)
	v_mul_f32_e32 v54, v57, v18
	v_mul_f32_e32 v15, v47, v18
	v_fmac_f32_e32 v54, v47, v17
	v_fma_f32 v47, v57, v17, -v15
	ds_read2_b32 v[15:16], v36 offset0:181 offset1:244
	s_waitcnt vmcnt(3)
	v_mul_f32_e32 v57, v55, v20
	v_mul_f32_e32 v17, v42, v20
	v_fmac_f32_e32 v57, v42, v19
	v_fma_f32 v19, v55, v19, -v17
	s_waitcnt lgkmcnt(0)
	v_mul_f32_e32 v20, v15, v22
	v_mul_f32_e32 v17, v48, v22
	v_fmac_f32_e32 v20, v48, v21
	v_fma_f32 v21, v15, v21, -v17
	ds_read2_b32 v[17:18], v35 offset0:185 offset1:248
	s_waitcnt vmcnt(2)
	v_mul_f32_e32 v22, v16, v26
	v_mul_f32_e32 v15, v49, v26
	v_fmac_f32_e32 v22, v49, v25
	v_fma_f32 v25, v16, v25, -v15
	v_mul_f32_e32 v15, v50, v24
	s_waitcnt lgkmcnt(0)
	v_mul_f32_e32 v26, v17, v24
	v_fma_f32 v17, v17, v23, -v15
	ds_read2_b32 v[15:16], v32 offset0:51 offset1:114
	v_fmac_f32_e32 v26, v50, v23
	s_waitcnt vmcnt(1)
	v_mul_f32_e32 v23, v18, v28
	v_mul_f32_e32 v24, v51, v28
	v_fmac_f32_e32 v23, v51, v27
	v_fma_f32 v18, v18, v27, -v24
	v_mul_f32_e32 v27, v52, v30
	s_waitcnt lgkmcnt(0)
	v_mul_f32_e32 v24, v15, v30
	v_fma_f32 v15, v15, v29, -v27
	s_waitcnt vmcnt(0)
	v_mul_f32_e32 v27, v56, v38
	v_mul_f32_e32 v28, v46, v38
	v_fmac_f32_e32 v27, v46, v37
	v_fma_f32 v28, v56, v37, -v28
	v_mul_f32_e32 v30, v53, v40
	v_add_f32_e32 v37, v69, v54
	v_fmac_f32_e32 v24, v52, v29
	v_mul_f32_e32 v29, v16, v40
	v_fma_f32 v16, v16, v39, -v30
	v_add_f32_e32 v30, v61, v69
	v_fmac_f32_e32 v61, -0.5, v37
	v_sub_f32_e32 v31, v41, v47
	v_mov_b32_e32 v37, v61
	v_add_f32_e32 v30, v30, v54
	v_fmac_f32_e32 v37, 0xbf5db3d7, v31
	v_fmac_f32_e32 v61, 0x3f5db3d7, v31
	v_add_f32_e32 v31, v57, v20
	v_fmac_f32_e32 v29, v53, v39
	ds_read_b32 v39, v0
	ds_read_b32 v40, v10
	;; [unrolled: 1-line block ×5, first 2 shown]
	s_waitcnt lgkmcnt(0)
	; wave barrier
	s_waitcnt lgkmcnt(0)
	ds_write2_b32 v13, v30, v37 offset1:9
	v_add_f32_e32 v30, v62, v57
	v_fmac_f32_e32 v62, -0.5, v31
	v_mul_u32_u24_e32 v31, 0x6c, v58
	v_lshlrev_b32_sdwa v37, v7, v59 dst_sel:DWORD dst_unused:UNUSED_PAD src0_sel:DWORD src1_sel:BYTE_0
	v_add3_u32 v31, 0, v31, v37
	v_sub_f32_e32 v37, v19, v21
	v_mov_b32_e32 v38, v62
	v_add_f32_e32 v30, v30, v20
	v_fmac_f32_e32 v38, 0xbf5db3d7, v37
	v_fmac_f32_e32 v62, 0x3f5db3d7, v37
	v_add_f32_e32 v37, v26, v22
	ds_write_b32 v13, v61 offset:72
	ds_write2_b32 v31, v30, v38 offset1:9
	v_add_f32_e32 v30, v63, v26
	v_fmac_f32_e32 v63, -0.5, v37
	v_mul_u32_u24_e32 v37, 0x6c, v60
	v_lshlrev_b32_sdwa v38, v7, v66 dst_sel:DWORD dst_unused:UNUSED_PAD src0_sel:DWORD src1_sel:BYTE_0
	v_add3_u32 v50, 0, v37, v38
	v_sub_f32_e32 v37, v17, v25
	v_mov_b32_e32 v38, v63
	v_add_f32_e32 v30, v30, v22
	v_fmac_f32_e32 v38, 0xbf5db3d7, v37
	v_fmac_f32_e32 v63, 0x3f5db3d7, v37
	v_add_f32_e32 v37, v23, v24
	ds_write_b32 v31, v62 offset:72
	ds_write2_b32 v50, v30, v38 offset1:9
	v_add_f32_e32 v30, v64, v23
	v_fmac_f32_e32 v64, -0.5, v37
	v_lshlrev_b32_sdwa v37, v7, v67 dst_sel:DWORD dst_unused:UNUSED_PAD src0_sel:DWORD src1_sel:BYTE_0
	v_add3_u32 v11, 0, v11, v37
	v_sub_f32_e32 v37, v18, v15
	v_mov_b32_e32 v38, v64
	v_add_f32_e32 v30, v30, v24
	v_fmac_f32_e32 v38, 0xbf5db3d7, v37
	v_fmac_f32_e32 v64, 0x3f5db3d7, v37
	v_add_f32_e32 v37, v27, v29
	ds_write_b32 v50, v63 offset:72
	ds_write2_b32 v11, v30, v38 offset1:9
	v_add_f32_e32 v30, v65, v27
	v_fmac_f32_e32 v65, -0.5, v37
	v_lshlrev_b32_e32 v37, 2, v68
	v_add3_u32 v9, 0, v9, v37
	v_sub_f32_e32 v37, v28, v16
	v_mov_b32_e32 v38, v65
	v_add_f32_e32 v30, v30, v29
	v_fmac_f32_e32 v38, 0xbf5db3d7, v37
	ds_write_b32 v11, v64 offset:72
	ds_write2_b32 v9, v30, v38 offset1:9
	v_add_f32_e32 v38, v41, v47
	v_add_f32_e32 v30, v39, v41
	v_fmac_f32_e32 v39, -0.5, v38
	v_add_f32_e32 v30, v30, v47
	v_sub_f32_e32 v41, v69, v54
	v_mov_b32_e32 v47, v39
	v_fmac_f32_e32 v65, 0x3f5db3d7, v37
	v_fmac_f32_e32 v47, 0x3f5db3d7, v41
	;; [unrolled: 1-line block ×3, first 2 shown]
	ds_write_b32 v9, v65 offset:72
	s_waitcnt lgkmcnt(0)
	; wave barrier
	s_waitcnt lgkmcnt(0)
	ds_read_b32 v71, v10
	ds_read_b32 v58, v33
	ds_read_b32 v72, v12
	ds_read2_b32 v[67:68], v0 offset1:252
	ds_read2_b32 v[48:49], v35 offset0:59 offset1:122
	ds_read2_b32 v[37:38], v36 offset0:55 offset1:118
	;; [unrolled: 1-line block ×5, first 2 shown]
	s_waitcnt lgkmcnt(0)
	; wave barrier
	s_waitcnt lgkmcnt(0)
	ds_write2_b32 v13, v30, v47 offset1:9
	ds_write_b32 v13, v39 offset:72
	v_add_f32_e32 v13, v40, v19
	v_add_f32_e32 v19, v19, v21
	v_fmac_f32_e32 v40, -0.5, v19
	v_sub_f32_e32 v19, v57, v20
	v_mov_b32_e32 v20, v40
	v_add_f32_e32 v13, v13, v21
	v_fmac_f32_e32 v20, 0x3f5db3d7, v19
	ds_write2_b32 v31, v13, v20 offset1:9
	v_add_f32_e32 v13, v42, v17
	v_add_f32_e32 v17, v17, v25
	v_fmac_f32_e32 v42, -0.5, v17
	v_fmac_f32_e32 v40, 0xbf5db3d7, v19
	v_sub_f32_e32 v17, v26, v22
	v_mov_b32_e32 v19, v42
	v_fmac_f32_e32 v19, 0x3f5db3d7, v17
	v_fmac_f32_e32 v42, 0xbf5db3d7, v17
	v_add_f32_e32 v17, v46, v18
	v_add_f32_e32 v17, v17, v15
	;; [unrolled: 1-line block ×3, first 2 shown]
	v_fmac_f32_e32 v46, -0.5, v15
	v_sub_f32_e32 v15, v23, v24
	v_mov_b32_e32 v18, v46
	v_fmac_f32_e32 v18, 0x3f5db3d7, v15
	v_fmac_f32_e32 v46, 0xbf5db3d7, v15
	v_add_f32_e32 v15, v34, v28
	v_add_f32_e32 v15, v15, v16
	;; [unrolled: 1-line block ×3, first 2 shown]
	v_fmac_f32_e32 v34, -0.5, v16
	v_sub_f32_e32 v16, v27, v29
	v_mov_b32_e32 v20, v34
	v_add_f32_e32 v13, v13, v25
	v_fmac_f32_e32 v20, 0x3f5db3d7, v16
	v_fmac_f32_e32 v34, 0xbf5db3d7, v16
	ds_write_b32 v31, v40 offset:72
	ds_write2_b32 v50, v13, v19 offset1:9
	ds_write_b32 v50, v42 offset:72
	ds_write2_b32 v11, v17, v18 offset1:9
	ds_write_b32 v11, v46 offset:72
	ds_write2_b32 v9, v15, v20 offset1:9
	ds_write_b32 v9, v34 offset:72
	v_mov_b32_e32 v9, 19
	v_mul_lo_u16_sdwa v11, v43, v9 dst_sel:DWORD dst_unused:UNUSED_PAD src0_sel:BYTE_0 src1_sel:DWORD
	v_lshrrev_b16_e32 v46, 9, v11
	v_mul_lo_u16_e32 v11, 27, v46
	v_sub_u16_e32 v50, v43, v11
	v_mov_b32_e32 v11, 5
	v_lshlrev_b32_sdwa v13, v11, v50 dst_sel:DWORD dst_unused:UNUSED_PAD src0_sel:DWORD src1_sel:BYTE_0
	v_mul_lo_u16_sdwa v19, v45, v9 dst_sel:DWORD dst_unused:UNUSED_PAD src0_sel:BYTE_0 src1_sel:DWORD
	s_waitcnt lgkmcnt(0)
	; wave barrier
	s_waitcnt lgkmcnt(0)
	global_load_dwordx4 v[15:18], v13, s[8:9] offset:208
	v_lshrrev_b16_e32 v73, 9, v19
	v_mul_lo_u16_e32 v19, 27, v73
	v_sub_u16_e32 v74, v45, v19
	v_lshlrev_b32_sdwa v31, v11, v74 dst_sel:DWORD dst_unused:UNUSED_PAD src0_sel:DWORD src1_sel:BYTE_0
	global_load_dwordx4 v[19:22], v31, s[8:9] offset:208
	v_mul_lo_u16_sdwa v9, v44, v9 dst_sel:DWORD dst_unused:UNUSED_PAD src0_sel:BYTE_0 src1_sel:DWORD
	v_lshrrev_b16_e32 v9, 9, v9
	v_mul_lo_u16_e32 v23, 27, v9
	v_sub_u16_e32 v75, v44, v23
	v_lshlrev_b32_sdwa v11, v11, v75 dst_sel:DWORD dst_unused:UNUSED_PAD src0_sel:DWORD src1_sel:BYTE_0
	global_load_dwordx4 v[23:26], v11, s[8:9] offset:208
	global_load_dwordx4 v[27:30], v13, s[8:9] offset:192
	;; [unrolled: 1-line block ×4, first 2 shown]
	ds_read2_b32 v[41:42], v36 offset0:55 offset1:118
	ds_read2_b32 v[56:57], v36 offset0:181 offset1:244
	v_mul_u32_u24_e32 v9, 0x21c, v9
	s_waitcnt vmcnt(5) lgkmcnt(1)
	v_mul_f32_e32 v47, v41, v16
	v_mul_f32_e32 v11, v37, v16
	v_fmac_f32_e32 v47, v37, v15
	v_fma_f32 v40, v41, v15, -v11
	ds_read2_b32 v[15:16], v32 offset0:51 offset1:114
	v_mul_f32_e32 v11, v53, v18
	s_waitcnt lgkmcnt(1)
	v_fma_f32 v41, v57, v17, -v11
	s_waitcnt vmcnt(4)
	v_mul_f32_e32 v11, v38, v20
	v_mul_f32_e32 v51, v57, v18
	v_fma_f32 v18, v42, v19, -v11
	v_mul_f32_e32 v11, v54, v22
	s_waitcnt lgkmcnt(0)
	v_fma_f32 v31, v15, v21, -v11
	s_waitcnt vmcnt(3)
	v_mul_f32_e32 v11, v52, v24
	v_mul_f32_e32 v37, v42, v20
	v_fma_f32 v13, v56, v23, -v11
	ds_read_b32 v11, v33
	v_fmac_f32_e32 v37, v38, v19
	v_mul_f32_e32 v38, v15, v22
	v_mul_f32_e32 v15, v55, v26
	;; [unrolled: 1-line block ×3, first 2 shown]
	v_fma_f32 v16, v16, v25, -v15
	ds_read2_b32 v[19:20], v35 offset0:59 offset1:122
	ds_read_b32 v15, v12
	s_waitcnt vmcnt(2)
	v_mul_f32_e32 v12, v58, v28
	v_fmac_f32_e32 v51, v53, v17
	s_waitcnt lgkmcnt(2)
	v_mul_f32_e32 v57, v11, v28
	v_fma_f32 v53, v11, v27, -v12
	v_mul_f32_e32 v11, v49, v30
	v_fmac_f32_e32 v38, v54, v21
	v_fmac_f32_e32 v57, v58, v27
	s_waitcnt lgkmcnt(1)
	v_mul_f32_e32 v58, v20, v30
	v_fma_f32 v54, v20, v29, -v11
	ds_read2_b32 v[20:21], v35 offset0:185 offset1:248
	s_waitcnt vmcnt(1)
	v_mul_f32_e32 v11, v48, v60
	v_fma_f32 v33, v19, v59, -v11
	v_mul_f32_e32 v11, v70, v62
	v_mul_f32_e32 v17, v56, v24
	s_waitcnt lgkmcnt(0)
	v_fma_f32 v39, v21, v61, -v11
	ds_read2_b32 v[11:12], v0 offset1:252
	v_mul_f32_e32 v42, v19, v60
	s_waitcnt vmcnt(0)
	v_mul_f32_e32 v19, v69, v66
	v_fmac_f32_e32 v17, v52, v23
	v_fmac_f32_e32 v58, v49, v29
	v_fma_f32 v52, v20, v65, -v19
	v_mul_f32_e32 v19, v68, v64
	v_mul_f32_e32 v49, v21, v62
	s_waitcnt lgkmcnt(0)
	v_mul_f32_e32 v56, v12, v64
	v_fma_f32 v12, v12, v63, -v19
	v_add_f32_e32 v19, v58, v47
	v_add_f32_e32 v21, v57, v51
	v_fmac_f32_e32 v34, v55, v25
	v_mul_f32_e32 v55, v20, v66
	v_fma_f32 v19, -0.5, v19, v67
	v_add_f32_e32 v20, v67, v57
	v_fmac_f32_e32 v67, -0.5, v21
	v_sub_f32_e32 v21, v58, v57
	v_sub_f32_e32 v22, v47, v51
	v_add_f32_e32 v21, v21, v22
	v_sub_f32_e32 v22, v54, v40
	v_mov_b32_e32 v23, v67
	v_fmac_f32_e32 v23, 0x3f737871, v22
	v_sub_f32_e32 v24, v53, v41
	v_fmac_f32_e32 v67, 0xbf737871, v22
	v_fmac_f32_e32 v23, 0xbf167918, v24
	;; [unrolled: 1-line block ×5, first 2 shown]
	v_lshlrev_b32_sdwa v21, v7, v50 dst_sel:DWORD dst_unused:UNUSED_PAD src0_sel:DWORD src1_sel:BYTE_0
	v_mul_u32_u24_e32 v25, 0x21c, v46
	v_fmac_f32_e32 v42, v48, v59
	v_add3_u32 v59, 0, v25, v21
	ds_read_b32 v60, v10
	s_waitcnt lgkmcnt(0)
	; wave barrier
	s_waitcnt lgkmcnt(0)
	ds_write2_b32 v59, v23, v67 offset0:54 offset1:81
	v_sub_f32_e32 v21, v57, v58
	v_sub_f32_e32 v23, v51, v47
	v_add_f32_e32 v21, v21, v23
	v_mov_b32_e32 v23, v19
	v_add_f32_e32 v20, v20, v58
	v_fmac_f32_e32 v23, 0xbf737871, v24
	v_add_f32_e32 v20, v20, v47
	v_fmac_f32_e32 v23, 0xbf167918, v22
	v_fmac_f32_e32 v19, 0x3f737871, v24
	;; [unrolled: 1-line block ×4, first 2 shown]
	v_add_f32_e32 v20, v20, v51
	v_fmac_f32_e32 v23, 0x3e9e377a, v21
	v_fmac_f32_e32 v19, 0x3f167918, v22
	ds_write2_b32 v59, v20, v23 offset1:27
	v_fmac_f32_e32 v19, 0x3e9e377a, v21
	v_sub_f32_e32 v20, v56, v55
	v_sub_f32_e32 v21, v38, v37
	v_add_f32_e32 v20, v20, v21
	ds_write_b32 v59, v19 offset:432
	v_lshlrev_b32_sdwa v19, v7, v74 dst_sel:DWORD dst_unused:UNUSED_PAD src0_sel:DWORD src1_sel:BYTE_0
	v_mul_u32_u24_e32 v21, 0x21c, v73
	v_fmac_f32_e32 v49, v70, v61
	v_add3_u32 v61, 0, v21, v19
	v_add_f32_e32 v21, v55, v37
	v_fma_f32 v21, -0.5, v21, v71
	v_add_f32_e32 v19, v71, v56
	v_sub_f32_e32 v22, v12, v31
	v_mov_b32_e32 v23, v21
	v_add_f32_e32 v19, v19, v55
	v_fmac_f32_e32 v23, 0xbf737871, v22
	v_sub_f32_e32 v24, v52, v18
	v_add_f32_e32 v19, v19, v37
	v_fmac_f32_e32 v23, 0xbf167918, v24
	v_add_f32_e32 v19, v19, v38
	v_fmac_f32_e32 v23, 0x3e9e377a, v20
	ds_write2_b32 v61, v19, v23 offset1:27
	v_add_f32_e32 v19, v56, v38
	v_fmac_f32_e32 v71, -0.5, v19
	v_sub_f32_e32 v19, v55, v56
	v_sub_f32_e32 v23, v37, v38
	v_add_f32_e32 v19, v19, v23
	v_mov_b32_e32 v23, v71
	v_fmac_f32_e32 v23, 0x3f737871, v24
	v_fmac_f32_e32 v71, 0xbf737871, v24
	v_lshlrev_b32_sdwa v7, v7, v75 dst_sel:DWORD dst_unused:UNUSED_PAD src0_sel:DWORD src1_sel:BYTE_0
	v_fmac_f32_e32 v21, 0x3f737871, v22
	v_fmac_f32_e32 v23, 0xbf167918, v22
	;; [unrolled: 1-line block ×4, first 2 shown]
	v_add3_u32 v62, 0, v9, v7
	v_add_f32_e32 v9, v49, v17
	v_fmac_f32_e32 v23, 0x3e9e377a, v19
	v_fmac_f32_e32 v71, 0x3e9e377a, v19
	;; [unrolled: 1-line block ×3, first 2 shown]
	v_sub_f32_e32 v19, v42, v49
	v_sub_f32_e32 v20, v34, v17
	v_fma_f32 v46, -0.5, v9, v72
	v_add_f32_e32 v19, v19, v20
	v_add_f32_e32 v7, v72, v42
	v_sub_f32_e32 v9, v33, v16
	v_mov_b32_e32 v20, v46
	ds_write_b32 v61, v21 offset:432
	v_add_f32_e32 v7, v7, v49
	v_fmac_f32_e32 v20, 0xbf737871, v9
	v_sub_f32_e32 v21, v39, v13
	v_add_f32_e32 v7, v7, v17
	v_fmac_f32_e32 v20, 0xbf167918, v21
	v_add_f32_e32 v7, v7, v34
	v_fmac_f32_e32 v20, 0x3e9e377a, v19
	ds_write2_b32 v61, v23, v71 offset0:54 offset1:81
	ds_write2_b32 v62, v7, v20 offset1:27
	v_add_f32_e32 v7, v42, v34
	v_fmac_f32_e32 v72, -0.5, v7
	v_sub_f32_e32 v7, v49, v42
	v_sub_f32_e32 v20, v17, v34
	v_add_f32_e32 v7, v7, v20
	v_mov_b32_e32 v20, v72
	v_fmac_f32_e32 v20, 0x3f737871, v21
	v_fmac_f32_e32 v72, 0xbf737871, v21
	;; [unrolled: 1-line block ×9, first 2 shown]
	ds_write2_b32 v62, v20, v72 offset0:54 offset1:81
	ds_write_b32 v62, v46 offset:432
	s_waitcnt lgkmcnt(0)
	; wave barrier
	s_waitcnt lgkmcnt(0)
	v_add_u32_e32 v64, 0x200, v0
	v_add_u32_e32 v66, 0x600, v0
	;; [unrolled: 1-line block ×3, first 2 shown]
	ds_read_b32 v48, v10
	ds_read_b32 v50, v0 offset:3492
	ds_read2_b32 v[19:20], v0 offset1:135
	ds_read2_b32 v[21:22], v64 offset0:70 offset1:142
	ds_read2_b32 v[27:28], v35 offset0:77 offset1:149
	;; [unrolled: 1-line block ×5, first 2 shown]
	v_sub_u32_e32 v67, 0, v6
	v_sub_u32_e32 v6, 0, v8
	v_add_u32_e32 v63, v5, v6
                                        ; implicit-def: $vgpr5
                                        ; implicit-def: $vgpr8
                                        ; implicit-def: $vgpr10
	s_and_saveexec_b64 s[6:7], s[0:1]
	s_cbranch_execz .LBB0_15
; %bb.14:
	ds_read_b32 v46, v63
	ds_read2_b32 v[5:6], v35 offset0:5 offset1:140
	ds_read2_b32 v[7:8], v36 offset0:19 offset1:154
	;; [unrolled: 1-line block ×3, first 2 shown]
.LBB0_15:
	s_or_b64 exec, exec, s[6:7]
	v_add_f32_e32 v68, v54, v40
	v_fma_f32 v68, -0.5, v68, v11
	v_sub_f32_e32 v51, v57, v51
	v_mov_b32_e32 v57, v68
	v_fmac_f32_e32 v57, 0x3f737871, v51
	v_sub_f32_e32 v47, v58, v47
	v_sub_f32_e32 v58, v53, v54
	;; [unrolled: 1-line block ×3, first 2 shown]
	v_fmac_f32_e32 v68, 0xbf737871, v51
	v_add_f32_e32 v32, v11, v53
	v_fmac_f32_e32 v57, 0x3f167918, v47
	v_add_f32_e32 v58, v58, v69
	;; [unrolled: 2-line block ×3, first 2 shown]
	v_fmac_f32_e32 v57, 0x3e9e377a, v58
	v_fmac_f32_e32 v68, 0x3e9e377a, v58
	v_add_f32_e32 v58, v53, v41
	v_add_f32_e32 v32, v32, v40
	v_fmac_f32_e32 v11, -0.5, v58
	v_add_f32_e32 v32, v32, v41
	v_mov_b32_e32 v58, v11
	v_sub_f32_e32 v40, v40, v41
	v_add_f32_e32 v41, v52, v18
	v_fmac_f32_e32 v58, 0xbf737871, v47
	v_sub_f32_e32 v53, v54, v53
	v_fmac_f32_e32 v11, 0x3f737871, v47
	v_fma_f32 v41, -0.5, v41, v60
	v_fmac_f32_e32 v58, 0x3f167918, v51
	v_add_f32_e32 v40, v53, v40
	v_fmac_f32_e32 v11, 0xbf167918, v51
	v_sub_f32_e32 v38, v56, v38
	v_mov_b32_e32 v51, v41
	v_fmac_f32_e32 v58, 0x3e9e377a, v40
	v_fmac_f32_e32 v11, 0x3e9e377a, v40
	v_add_f32_e32 v40, v60, v12
	v_fmac_f32_e32 v51, 0x3f737871, v38
	v_sub_f32_e32 v37, v55, v37
	v_sub_f32_e32 v47, v12, v52
	;; [unrolled: 1-line block ×3, first 2 shown]
	v_fmac_f32_e32 v41, 0xbf737871, v38
	v_add_f32_e32 v40, v40, v52
	v_fmac_f32_e32 v51, 0x3f167918, v37
	v_add_f32_e32 v47, v47, v53
	;; [unrolled: 2-line block ×3, first 2 shown]
	v_fmac_f32_e32 v51, 0x3e9e377a, v47
	v_fmac_f32_e32 v41, 0x3e9e377a, v47
	v_add_f32_e32 v47, v12, v31
	v_sub_f32_e32 v12, v52, v12
	v_sub_f32_e32 v18, v18, v31
	v_add_f32_e32 v12, v12, v18
	v_add_f32_e32 v18, v39, v13
	v_fmac_f32_e32 v60, -0.5, v47
	v_fma_f32 v47, -0.5, v18, v15
	v_add_f32_e32 v40, v40, v31
	v_mov_b32_e32 v53, v60
	v_sub_f32_e32 v18, v42, v34
	v_mov_b32_e32 v31, v47
	v_fmac_f32_e32 v53, 0xbf737871, v37
	v_fmac_f32_e32 v60, 0x3f737871, v37
	;; [unrolled: 1-line block ×3, first 2 shown]
	v_sub_f32_e32 v17, v49, v17
	v_sub_f32_e32 v34, v33, v39
	;; [unrolled: 1-line block ×3, first 2 shown]
	v_fmac_f32_e32 v47, 0xbf737871, v18
	v_fmac_f32_e32 v31, 0x3f167918, v17
	v_add_f32_e32 v34, v34, v37
	v_fmac_f32_e32 v47, 0xbf167918, v17
	v_fmac_f32_e32 v53, 0x3f167918, v38
	;; [unrolled: 1-line block ×5, first 2 shown]
	v_add_f32_e32 v34, v33, v16
	v_fmac_f32_e32 v53, 0x3e9e377a, v12
	v_fmac_f32_e32 v60, 0x3e9e377a, v12
	v_add_f32_e32 v12, v15, v33
	v_fmac_f32_e32 v15, -0.5, v34
	v_add_f32_e32 v12, v12, v39
	v_mov_b32_e32 v34, v15
	v_add_f32_e32 v12, v12, v13
	v_fmac_f32_e32 v34, 0xbf737871, v17
	v_sub_f32_e32 v33, v39, v33
	v_sub_f32_e32 v13, v13, v16
	v_fmac_f32_e32 v34, 0x3f167918, v18
	v_add_f32_e32 v13, v33, v13
	v_fmac_f32_e32 v15, 0x3f737871, v17
	v_fmac_f32_e32 v34, 0x3e9e377a, v13
	;; [unrolled: 1-line block ×3, first 2 shown]
	v_add_f32_e32 v12, v12, v16
	v_fmac_f32_e32 v15, 0x3e9e377a, v13
	s_waitcnt lgkmcnt(0)
	; wave barrier
	s_waitcnt lgkmcnt(0)
	ds_write2_b32 v59, v32, v57 offset1:27
	ds_write2_b32 v59, v58, v11 offset0:54 offset1:81
	ds_write_b32 v59, v68 offset:432
	ds_write2_b32 v61, v40, v51 offset1:27
	ds_write2_b32 v61, v53, v60 offset0:54 offset1:81
	ds_write_b32 v61, v41 offset:432
	;; [unrolled: 3-line block ×3, first 2 shown]
	s_waitcnt lgkmcnt(0)
	; wave barrier
	s_waitcnt lgkmcnt(0)
	ds_read2_b32 v[31:32], v0 offset1:135
	ds_read2_b32 v[33:34], v64 offset0:70 offset1:142
	ds_read2_b32 v[39:40], v35 offset0:77 offset1:149
	;; [unrolled: 1-line block ×5, first 2 shown]
	v_add_u32_e32 v11, v14, v67
	ds_read_b32 v49, v11
	ds_read_b32 v51, v0 offset:3492
                                        ; implicit-def: $vgpr11
                                        ; implicit-def: $vgpr14
                                        ; implicit-def: $vgpr16
	s_and_saveexec_b64 s[6:7], s[0:1]
	s_cbranch_execz .LBB0_17
; %bb.16:
	v_add_u32_e32 v11, 0x400, v0
	v_add_u32_e32 v13, 0x800, v0
	;; [unrolled: 1-line block ×3, first 2 shown]
	ds_read_b32 v47, v63
	ds_read2_b32 v[11:12], v11 offset0:5 offset1:140
	ds_read2_b32 v[13:14], v13 offset0:19 offset1:154
	ds_read2_b32 v[15:16], v0 offset0:33 offset1:168
.LBB0_17:
	s_or_b64 exec, exec, s[6:7]
	s_and_saveexec_b64 s[6:7], vcc
	s_cbranch_execz .LBB0_20
; %bb.18:
	v_mul_i32_i24_e32 v17, 6, v45
	v_mov_b32_e32 v18, 0
	v_lshlrev_b64 v[52:53], 3, v[17:18]
	v_mov_b32_e32 v0, s9
	v_add_co_u32_e32 v64, vcc, s8, v52
	v_addc_co_u32_e32 v65, vcc, v0, v53, vcc
	global_load_dwordx4 v[52:55], v[64:65], off offset:1056
	global_load_dwordx4 v[56:59], v[64:65], off offset:1088
	;; [unrolled: 1-line block ×3, first 2 shown]
	v_mul_u32_u24_e32 v45, 6, v43
	v_lshlrev_b32_e32 v45, 3, v45
	global_load_dwordx4 v[64:67], v45, s[8:9] offset:1088
	global_load_dwordx4 v[68:71], v45, s[8:9] offset:1072
	;; [unrolled: 1-line block ×3, first 2 shown]
	v_mul_lo_u32 v0, s5, v3
	v_mul_lo_u32 v17, s4, v4
	v_mad_u64_u32 v[3:4], s[4:5], s4, v3, 0
	s_mov_b32 s5, 0xbf5ff5aa
	s_mov_b32 s6, 0xbf3bfb3b
	v_add3_u32 v4, v4, v17, v0
	s_mov_b32 s7, 0x3f3bfb3b
	s_mov_b32 s4, 0x3eae86e6
	;; [unrolled: 1-line block ×3, first 2 shown]
	s_movk_i32 s10, 0x87
	v_lshlrev_b64 v[3:4], 3, v[3:4]
	s_waitcnt vmcnt(5)
	v_mul_f32_e32 v0, v21, v52
	s_waitcnt vmcnt(4)
	v_mul_f32_e32 v17, v50, v58
	;; [unrolled: 2-line block ×3, first 2 shown]
	v_mul_f32_e32 v76, v25, v60
	v_mul_f32_e32 v77, v27, v54
	;; [unrolled: 1-line block ×8, first 2 shown]
	s_waitcnt lgkmcnt(6)
	v_fmac_f32_e32 v0, v33, v53
	s_waitcnt lgkmcnt(0)
	v_fmac_f32_e32 v17, v51, v59
	v_fmac_f32_e32 v45, v35, v63
	;; [unrolled: 1-line block ×5, first 2 shown]
	v_mul_f32_e32 v25, v25, v61
	v_fma_f32 v50, v51, v58, -v50
	v_fma_f32 v21, v33, v52, -v21
	;; [unrolled: 1-line block ×5, first 2 shown]
	v_sub_f32_e32 v33, v0, v17
	v_sub_f32_e32 v35, v45, v76
	v_add_f32_e32 v0, v0, v17
	v_add_f32_e32 v17, v45, v76
	;; [unrolled: 1-line block ×3, first 2 shown]
	v_fma_f32 v25, v37, v60, -v25
	v_add_f32_e32 v39, v21, v50
	v_add_f32_e32 v52, v27, v29
	v_sub_f32_e32 v55, v17, v45
	v_add_f32_e32 v56, v0, v45
	v_add_f32_e32 v41, v23, v25
	v_sub_f32_e32 v21, v21, v50
	v_sub_f32_e32 v23, v23, v25
	;; [unrolled: 1-line block ×3, first 2 shown]
	v_add_f32_e32 v53, v39, v52
	v_sub_f32_e32 v54, v0, v17
	v_mul_f32_e32 v62, 0x3d64c772, v55
	v_add_f32_e32 v17, v17, v56
	v_sub_f32_e32 v50, v39, v41
	v_sub_f32_e32 v51, v41, v52
	;; [unrolled: 1-line block ×4, first 2 shown]
	v_add_f32_e32 v41, v41, v53
	v_mov_b32_e32 v53, v62
	v_add_f32_e32 v48, v48, v17
	v_add_f32_e32 v23, v23, v25
	v_sub_f32_e32 v37, v77, v78
	v_mul_f32_e32 v61, 0x3f4a47b2, v54
	v_mul_f32_e32 v56, 0x3f08b237, v58
	v_fmac_f32_e32 v53, 0x3f4a47b2, v54
	v_mov_b32_e32 v54, v48
	v_add_f32_e32 v23, v21, v23
	v_sub_f32_e32 v0, v45, v0
	v_sub_f32_e32 v21, v25, v21
	;; [unrolled: 1-line block ×4, first 2 shown]
	v_add_f32_e32 v35, v35, v37
	v_add_f32_e32 v49, v49, v41
	v_fmac_f32_e32 v54, 0xbf955555, v17
	v_fma_f32 v45, v0, s6, -v61
	v_mul_f32_e32 v25, 0xbf5ff5aa, v21
	v_fma_f32 v21, v21, s5, -v56
	v_fma_f32 v0, v0, s7, -v62
	v_mul_f32_e32 v29, 0x3f08b237, v29
	v_add_f32_e32 v35, v33, v35
	v_mov_b32_e32 v55, v49
	v_sub_f32_e32 v33, v37, v33
	v_fmac_f32_e32 v21, 0xbee1c552, v23
	v_add_f32_e32 v0, v0, v54
	v_mul_f32_e32 v60, 0x3d64c772, v51
	v_mov_b32_e32 v63, v29
	v_mov_b32_e32 v76, v56
	v_fmac_f32_e32 v55, 0xbf955555, v41
	v_add_f32_e32 v41, v53, v54
	v_mul_f32_e32 v37, 0xbf5ff5aa, v33
	v_add_f32_e32 v45, v45, v54
	v_fma_f32 v25, v57, s4, -v25
	v_add_f32_e32 v54, v21, v0
	v_sub_f32_e32 v56, v0, v21
	s_waitcnt vmcnt(0)
	v_mul_f32_e32 v0, v20, v72
	v_mul_f32_e32 v20, v20, v73
	v_mov_b32_e32 v51, v60
	v_fmac_f32_e32 v63, 0xbeae86e6, v27
	v_fma_f32 v27, v27, s4, -v37
	v_fmac_f32_e32 v25, 0xbee1c552, v23
	v_fma_f32 v29, v33, s5, -v29
	;; [unrolled: 2-line block ×3, first 2 shown]
	v_mul_f32_e32 v20, v28, v69
	v_fmac_f32_e32 v51, 0x3f4a47b2, v50
	v_fmac_f32_e32 v63, 0xbee1c552, v35
	;; [unrolled: 1-line block ×3, first 2 shown]
	v_sub_f32_e32 v37, v52, v39
	v_sub_f32_e32 v52, v45, v25
	v_fmac_f32_e32 v29, 0xbee1c552, v35
	v_add_f32_e32 v58, v25, v45
	v_mul_f32_e32 v25, v28, v68
	v_mul_f32_e32 v33, v22, v74
	;; [unrolled: 1-line block ×3, first 2 shown]
	v_fma_f32 v28, v40, v68, -v20
	v_mul_f32_e32 v20, v26, v71
	v_mul_f32_e32 v24, v24, v65
	;; [unrolled: 1-line block ×4, first 2 shown]
	v_add_f32_e32 v17, v51, v55
	v_mul_f32_e32 v21, v26, v70
	v_fmac_f32_e32 v33, v34, v75
	v_fma_f32 v26, v38, v70, -v20
	v_fma_f32 v24, v36, v64, -v24
	v_fma_f32 v34, v34, v74, -v22
	v_add_f32_e32 v51, v63, v17
	v_fma_f32 v39, v37, s6, -v59
	v_fma_f32 v37, v37, s7, -v60
	v_sub_f32_e32 v61, v17, v63
	v_mul_f32_e32 v17, v30, v66
	v_fmac_f32_e32 v35, v36, v65
	v_mul_f32_e32 v30, v30, v67
	v_add_f32_e32 v20, v26, v28
	v_add_f32_e32 v36, v34, v24
	v_fmac_f32_e32 v76, 0xbeae86e6, v57
	v_add_f32_e32 v37, v37, v55
	v_fmac_f32_e32 v17, v42, v67
	v_fmac_f32_e32 v21, v38, v71
	;; [unrolled: 1-line block ×3, first 2 shown]
	v_fma_f32 v30, v42, v66, -v30
	v_sub_f32_e32 v22, v20, v36
	v_fmac_f32_e32 v76, 0xbee1c552, v23
	v_add_f32_e32 v39, v39, v55
	v_sub_f32_e32 v55, v37, v29
	v_add_f32_e32 v57, v29, v37
	v_sub_f32_e32 v23, v0, v17
	v_sub_f32_e32 v37, v33, v35
	v_add_f32_e32 v42, v32, v30
	v_mul_f32_e32 v45, 0x3d64c772, v22
	v_add_f32_e32 v0, v0, v17
	v_add_f32_e32 v17, v21, v25
	;; [unrolled: 1-line block ×4, first 2 shown]
	v_sub_f32_e32 v59, v39, v27
	v_sub_f32_e32 v27, v21, v25
	;; [unrolled: 1-line block ×3, first 2 shown]
	v_mov_b32_e32 v22, v45
	v_sub_f32_e32 v35, v17, v33
	v_sub_f32_e32 v39, v27, v37
	v_mul_f32_e32 v40, 0x3f4a47b2, v38
	v_fmac_f32_e32 v22, 0x3f4a47b2, v38
	v_add_f32_e32 v38, v42, v36
	v_mul_f32_e32 v35, 0x3d64c772, v35
	v_sub_f32_e32 v29, v23, v27
	v_mul_f32_e32 v39, 0x3f08b237, v39
	v_add_f32_e32 v27, v27, v37
	v_add_f32_e32 v38, v20, v38
	v_sub_f32_e32 v21, v0, v17
	v_mov_b32_e32 v62, v35
	v_sub_f32_e32 v37, v37, v23
	v_sub_f32_e32 v50, v41, v76
	v_add_f32_e32 v60, v76, v41
	v_mov_b32_e32 v41, v39
	v_add_f32_e32 v27, v23, v27
	v_add_f32_e32 v20, v31, v38
	v_mul_f32_e32 v25, 0x3f4a47b2, v21
	v_fmac_f32_e32 v62, 0x3f4a47b2, v21
	v_add_f32_e32 v21, v0, v33
	v_mul_f32_e32 v23, 0xbf5ff5aa, v37
	v_fmac_f32_e32 v41, 0xbeae86e6, v29
	v_mov_b32_e32 v31, v20
	v_add_f32_e32 v17, v17, v21
	v_sub_f32_e32 v30, v32, v30
	v_sub_f32_e32 v21, v26, v28
	;; [unrolled: 1-line block ×3, first 2 shown]
	v_fma_f32 v64, v29, s4, -v23
	v_sub_f32_e32 v29, v36, v42
	v_fmac_f32_e32 v31, 0xbf955555, v38
	v_sub_f32_e32 v26, v30, v21
	v_sub_f32_e32 v24, v21, v28
	v_add_f32_e32 v21, v21, v28
	v_fma_f32 v23, v29, s6, -v40
	v_sub_f32_e32 v0, v33, v0
	v_add_f32_e32 v19, v19, v17
	v_add_f32_e32 v34, v30, v21
	;; [unrolled: 1-line block ×3, first 2 shown]
	v_fma_f32 v23, v0, s6, -v25
	v_sub_f32_e32 v25, v28, v30
	v_fma_f32 v30, v37, s5, -v39
	v_fmac_f32_e32 v41, 0xbee1c552, v27
	v_mov_b32_e32 v63, v19
	v_fmac_f32_e32 v64, 0xbee1c552, v27
	v_fmac_f32_e32 v30, 0xbee1c552, v27
	v_mul_hi_u32 v27, v43, s11
	v_fmac_f32_e32 v63, 0xbf955555, v17
	v_mul_f32_e32 v32, 0x3f08b237, v24
	v_add_f32_e32 v17, v62, v63
	v_mov_b32_e32 v62, v32
	v_add_f32_e32 v40, v23, v63
	v_mul_f32_e32 v23, 0xbf5ff5aa, v25
	v_fmac_f32_e32 v62, 0xbeae86e6, v26
	v_fma_f32 v42, v26, s4, -v23
	v_fma_f32 v26, v29, s7, -v45
	v_add_f32_e32 v38, v22, v31
	v_add_f32_e32 v29, v26, v31
	v_fma_f32 v31, v25, s5, -v32
	v_lshrrev_b32_e32 v25, 7, v27
	v_mul_lo_u32 v27, v25, s10
	v_fma_f32 v0, v0, s7, -v35
	v_fmac_f32_e32 v31, 0xbee1c552, v34
	v_add_f32_e32 v0, v0, v63
	v_sub_u32_e32 v39, v43, v27
	v_mad_u64_u32 v[27:28], s[12:13], s2, v39, 0
	v_sub_f32_e32 v26, v29, v30
	v_add_f32_e32 v25, v31, v0
	v_add_f32_e32 v30, v30, v29
	v_sub_f32_e32 v29, v0, v31
	v_mov_b32_e32 v0, v28
	v_fmac_f32_e32 v62, 0xbee1c552, v34
	v_fmac_f32_e32 v42, 0xbee1c552, v34
	v_mad_u64_u32 v[33:34], s[12:13], s3, v39, v[0:1]
	v_sub_f32_e32 v21, v17, v62
	v_add_f32_e32 v34, v62, v17
	v_mov_b32_e32 v0, s15
	v_add_co_u32_e32 v17, vcc, s14, v3
	v_addc_co_u32_e32 v4, vcc, v0, v4, vcc
	v_lshlrev_b64 v[0:1], 3, v[1:2]
	v_mov_b32_e32 v28, v33
	v_add_co_u32_e32 v0, vcc, v17, v0
	v_lshlrev_b64 v[27:28], 3, v[27:28]
	v_addc_co_u32_e32 v1, vcc, v4, v1, vcc
	v_add_u32_e32 v33, 0x87, v39
	v_add_co_u32_e32 v27, vcc, v0, v27
	v_mad_u64_u32 v[2:3], s[12:13], s2, v33, 0
	v_addc_co_u32_e32 v28, vcc, v1, v28, vcc
	v_add_u32_e32 v17, 0x10e, v39
	global_store_dwordx2 v[27:28], v[19:20], off
	v_mad_u64_u32 v[19:20], s[12:13], s2, v17, 0
	v_mad_u64_u32 v[3:4], s[12:13], s3, v33, v[3:4]
	v_mov_b32_e32 v4, v20
	v_mad_u64_u32 v[27:28], s[12:13], s3, v17, v[4:5]
	v_add_u32_e32 v17, 0x195, v39
	v_add_f32_e32 v24, v64, v36
	v_sub_f32_e32 v32, v36, v64
	v_mad_u64_u32 v[36:37], s[12:13], s2, v17, 0
	v_lshlrev_b64 v[2:3], 3, v[2:3]
	v_sub_f32_e32 v35, v38, v41
	v_add_co_u32_e32 v2, vcc, v0, v2
	v_addc_co_u32_e32 v3, vcc, v1, v3, vcc
	v_mov_b32_e32 v20, v27
	v_mov_b32_e32 v4, v37
	global_store_dwordx2 v[2:3], v[34:35], off
	v_lshlrev_b64 v[2:3], 3, v[19:20]
	v_mad_u64_u32 v[19:20], s[12:13], s3, v17, v[4:5]
	v_add_u32_e32 v17, 0x21c, v39
	v_add_co_u32_e32 v2, vcc, v0, v2
	v_mov_b32_e32 v37, v19
	v_mad_u64_u32 v[19:20], s[12:13], s2, v17, 0
	v_add_f32_e32 v31, v42, v40
	v_addc_co_u32_e32 v3, vcc, v1, v3, vcc
	v_mov_b32_e32 v4, v20
	v_mad_u64_u32 v[27:28], s[12:13], s3, v17, v[4:5]
	v_add_u32_e32 v17, 0x2a3, v39
	global_store_dwordx2 v[2:3], v[31:32], off
	v_mad_u64_u32 v[31:32], s[12:13], s2, v17, 0
	v_lshlrev_b64 v[2:3], 3, v[36:37]
	v_mov_b32_e32 v20, v27
	v_add_co_u32_e32 v2, vcc, v0, v2
	v_addc_co_u32_e32 v3, vcc, v1, v3, vcc
	v_mov_b32_e32 v4, v32
	global_store_dwordx2 v[2:3], v[29:30], off
	v_lshlrev_b64 v[2:3], 3, v[19:20]
	v_mad_u64_u32 v[19:20], s[12:13], s3, v17, v[4:5]
	v_add_u32_e32 v17, 63, v43
	v_mul_hi_u32 v4, v17, s11
	v_add_co_u32_e32 v2, vcc, v0, v2
	v_addc_co_u32_e32 v3, vcc, v1, v3, vcc
	global_store_dwordx2 v[2:3], v[25:26], off
	v_lshrrev_b32_e32 v25, 7, v4
	v_mul_lo_u32 v26, v25, s10
	v_add_u32_e32 v27, 0x32a, v39
	v_mov_b32_e32 v32, v19
	v_mad_u64_u32 v[19:20], s[12:13], s2, v27, 0
	v_sub_u32_e32 v17, v17, v26
	s_movk_i32 s11, 0x3b1
	v_mad_u64_u32 v[25:26], s[12:13], v25, s11, v[17:18]
	v_mov_b32_e32 v4, v20
	v_mad_u64_u32 v[26:27], s[12:13], s3, v27, v[4:5]
	v_mad_u64_u32 v[27:28], s[12:13], s2, v25, 0
	v_lshlrev_b64 v[2:3], 3, v[31:32]
	v_sub_f32_e32 v23, v40, v42
	v_add_co_u32_e32 v2, vcc, v0, v2
	v_addc_co_u32_e32 v3, vcc, v1, v3, vcc
	v_mov_b32_e32 v20, v26
	v_mov_b32_e32 v4, v28
	global_store_dwordx2 v[2:3], v[23:24], off
	v_lshlrev_b64 v[2:3], 3, v[19:20]
	v_mad_u64_u32 v[19:20], s[12:13], s3, v25, v[4:5]
	v_add_u32_e32 v17, 0x87, v25
	v_add_co_u32_e32 v2, vcc, v0, v2
	v_mov_b32_e32 v28, v19
	v_mad_u64_u32 v[19:20], s[12:13], s2, v17, 0
	v_add_f32_e32 v22, v41, v38
	v_addc_co_u32_e32 v3, vcc, v1, v3, vcc
	v_mov_b32_e32 v4, v20
	global_store_dwordx2 v[2:3], v[21:22], off
	v_mad_u64_u32 v[20:21], s[12:13], s3, v17, v[4:5]
	v_add_u32_e32 v17, 0x10e, v25
	v_mad_u64_u32 v[21:22], s[12:13], s2, v17, 0
	v_lshlrev_b64 v[2:3], 3, v[27:28]
	v_add_co_u32_e32 v2, vcc, v0, v2
	v_addc_co_u32_e32 v3, vcc, v1, v3, vcc
	v_mov_b32_e32 v4, v22
	global_store_dwordx2 v[2:3], v[48:49], off
	v_lshlrev_b64 v[2:3], 3, v[19:20]
	v_mad_u64_u32 v[19:20], s[12:13], s3, v17, v[4:5]
	v_add_u32_e32 v17, 0x195, v25
	v_add_co_u32_e32 v2, vcc, v0, v2
	v_mov_b32_e32 v22, v19
	v_mad_u64_u32 v[19:20], s[12:13], s2, v17, 0
	v_addc_co_u32_e32 v3, vcc, v1, v3, vcc
	v_mov_b32_e32 v4, v20
	global_store_dwordx2 v[2:3], v[60:61], off
	v_lshlrev_b64 v[2:3], 3, v[21:22]
	v_mad_u64_u32 v[20:21], s[12:13], s3, v17, v[4:5]
	v_add_u32_e32 v17, 0x21c, v25
	v_mad_u64_u32 v[21:22], s[12:13], s2, v17, 0
	v_add_co_u32_e32 v2, vcc, v0, v2
	v_addc_co_u32_e32 v3, vcc, v1, v3, vcc
	v_mov_b32_e32 v4, v22
	global_store_dwordx2 v[2:3], v[58:59], off
	v_lshlrev_b64 v[2:3], 3, v[19:20]
	v_mad_u64_u32 v[19:20], s[12:13], s3, v17, v[4:5]
	v_add_u32_e32 v17, 0x2a3, v25
	v_add_co_u32_e32 v2, vcc, v0, v2
	v_mov_b32_e32 v22, v19
	v_mad_u64_u32 v[19:20], s[12:13], s2, v17, 0
	v_addc_co_u32_e32 v3, vcc, v1, v3, vcc
	v_mov_b32_e32 v4, v20
	global_store_dwordx2 v[2:3], v[56:57], off
	v_lshlrev_b64 v[2:3], 3, v[21:22]
	v_mad_u64_u32 v[20:21], s[12:13], s3, v17, v[4:5]
	v_add_u32_e32 v17, 0x32a, v25
	v_mad_u64_u32 v[21:22], s[12:13], s2, v17, 0
	v_add_co_u32_e32 v2, vcc, v0, v2
	v_addc_co_u32_e32 v3, vcc, v1, v3, vcc
	v_mov_b32_e32 v4, v22
	global_store_dwordx2 v[2:3], v[54:55], off
	v_lshlrev_b64 v[2:3], 3, v[19:20]
	v_mad_u64_u32 v[19:20], s[12:13], s3, v17, v[4:5]
	v_add_co_u32_e32 v2, vcc, v0, v2
	v_addc_co_u32_e32 v3, vcc, v1, v3, vcc
	v_mov_b32_e32 v22, v19
	global_store_dwordx2 v[2:3], v[52:53], off
	v_lshlrev_b64 v[2:3], 3, v[21:22]
	v_add_co_u32_e32 v2, vcc, v0, v2
	v_addc_co_u32_e32 v3, vcc, v1, v3, vcc
	global_store_dwordx2 v[2:3], v[50:51], off
	v_add_u32_e32 v2, 0x7e, v43
	v_cmp_gt_u32_e32 vcc, s10, v2
	s_and_b64 exec, exec, vcc
	s_cbranch_execz .LBB0_20
; %bb.19:
	v_add_u32_e32 v3, -9, v43
	v_cndmask_b32_e64 v3, v3, v44, s[0:1]
	v_mul_i32_i24_e32 v17, 6, v3
	v_lshlrev_b64 v[3:4], 3, v[17:18]
	v_mov_b32_e32 v17, s9
	v_add_co_u32_e32 v3, vcc, s8, v3
	v_addc_co_u32_e32 v4, vcc, v17, v4, vcc
	global_load_dwordx4 v[17:20], v[3:4], off offset:1056
	global_load_dwordx4 v[21:24], v[3:4], off offset:1072
	;; [unrolled: 1-line block ×3, first 2 shown]
	s_waitcnt vmcnt(2)
	v_mul_f32_e32 v3, v11, v18
	v_mul_f32_e32 v4, v5, v18
	;; [unrolled: 1-line block ×4, first 2 shown]
	s_waitcnt vmcnt(1)
	v_mul_f32_e32 v30, v14, v24
	s_waitcnt vmcnt(0)
	v_mul_f32_e32 v31, v15, v26
	v_mul_f32_e32 v26, v9, v26
	;; [unrolled: 1-line block ×7, first 2 shown]
	v_fmac_f32_e32 v3, v5, v17
	v_fma_f32 v4, v11, v17, -v4
	v_fmac_f32_e32 v18, v6, v19
	v_fma_f32 v5, v12, v19, -v20
	v_fmac_f32_e32 v30, v8, v23
	v_fmac_f32_e32 v31, v9, v25
	v_fma_f32 v8, v15, v25, -v26
	v_fmac_f32_e32 v32, v10, v27
	v_fma_f32 v9, v16, v27, -v28
	;; [unrolled: 2-line block ×3, first 2 shown]
	v_fma_f32 v7, v14, v23, -v24
	v_add_f32_e32 v10, v3, v32
	v_add_f32_e32 v11, v4, v9
	v_sub_f32_e32 v4, v4, v9
	v_add_f32_e32 v9, v18, v31
	v_add_f32_e32 v12, v5, v8
	v_sub_f32_e32 v3, v3, v32
	v_sub_f32_e32 v13, v18, v31
	;; [unrolled: 1-line block ×3, first 2 shown]
	v_add_f32_e32 v8, v29, v30
	v_add_f32_e32 v14, v6, v7
	v_sub_f32_e32 v15, v30, v29
	v_sub_f32_e32 v6, v7, v6
	v_add_f32_e32 v7, v9, v10
	v_add_f32_e32 v16, v12, v11
	v_sub_f32_e32 v17, v9, v10
	v_sub_f32_e32 v18, v12, v11
	;; [unrolled: 1-line block ×6, first 2 shown]
	v_add_f32_e32 v19, v15, v13
	v_add_f32_e32 v20, v6, v5
	v_sub_f32_e32 v21, v15, v13
	v_sub_f32_e32 v22, v6, v5
	;; [unrolled: 1-line block ×4, first 2 shown]
	v_add_f32_e32 v7, v8, v7
	v_add_f32_e32 v8, v14, v16
	v_sub_f32_e32 v15, v3, v15
	v_sub_f32_e32 v6, v4, v6
	v_add_f32_e32 v14, v19, v3
	v_add_f32_e32 v16, v20, v4
	v_mul_f32_e32 v10, 0x3f4a47b2, v10
	v_mul_f32_e32 v11, 0x3f4a47b2, v11
	;; [unrolled: 1-line block ×8, first 2 shown]
	v_add_f32_e32 v4, v47, v8
	v_fma_f32 v19, v17, s7, -v19
	v_fma_f32 v20, v18, s7, -v20
	;; [unrolled: 1-line block ×3, first 2 shown]
	v_fmac_f32_e32 v10, 0x3d64c772, v9
	v_fma_f32 v9, v18, s6, -v11
	v_fma_f32 v18, v13, s5, -v21
	v_fmac_f32_e32 v21, 0xbeae86e6, v15
	v_fma_f32 v13, v5, s5, -v22
	v_fmac_f32_e32 v22, 0xbeae86e6, v6
	v_fma_f32 v23, v15, s4, -v23
	v_fma_f32 v15, v6, s4, -v24
	v_mov_b32_e32 v6, v4
	v_add_f32_e32 v3, v46, v7
	v_fmac_f32_e32 v11, 0x3d64c772, v12
	v_fmac_f32_e32 v6, 0xbf955555, v8
	v_mov_b32_e32 v5, v3
	v_add_f32_e32 v25, v11, v6
	v_mad_u64_u32 v[11:12], s[0:1], s2, v2, 0
	v_fmac_f32_e32 v5, 0xbf955555, v7
	v_add_f32_e32 v19, v19, v5
	v_fmac_f32_e32 v13, 0xbee1c552, v16
	v_add_f32_e32 v20, v20, v6
	v_add_f32_e32 v17, v17, v5
	v_add_f32_e32 v26, v9, v6
	v_fmac_f32_e32 v18, 0xbee1c552, v14
	v_fmac_f32_e32 v15, 0xbee1c552, v16
	v_sub_f32_e32 v9, v19, v13
	v_add_f32_e32 v13, v13, v19
	v_add_f32_e32 v24, v10, v5
	v_fmac_f32_e32 v21, 0xbee1c552, v14
	v_fmac_f32_e32 v23, 0xbee1c552, v14
	v_add_f32_e32 v7, v15, v17
	v_add_f32_e32 v10, v18, v20
	v_sub_f32_e32 v14, v20, v18
	v_sub_f32_e32 v15, v17, v15
	v_mad_u64_u32 v[17:18], s[0:1], s3, v2, v[12:13]
	v_sub_f32_e32 v6, v25, v21
	v_add_f32_e32 v19, v21, v25
	v_mov_b32_e32 v12, v17
	v_add_u32_e32 v17, 0x105, v43
	v_mad_u64_u32 v[20:21], s[0:1], s2, v17, 0
	v_fmac_f32_e32 v22, 0xbee1c552, v16
	v_add_f32_e32 v5, v22, v24
	v_mov_b32_e32 v2, v21
	v_sub_f32_e32 v18, v24, v22
	v_lshlrev_b64 v[11:12], 3, v[11:12]
	v_mad_u64_u32 v[21:22], s[0:1], s3, v17, v[2:3]
	v_add_co_u32_e32 v11, vcc, v0, v11
	v_addc_co_u32_e32 v12, vcc, v1, v12, vcc
	v_add_u32_e32 v17, 0x18c, v43
	v_sub_f32_e32 v8, v26, v23
	v_add_f32_e32 v16, v23, v26
	v_mad_u64_u32 v[22:23], s[0:1], s2, v17, 0
	global_store_dwordx2 v[11:12], v[3:4], off
	v_lshlrev_b64 v[2:3], 3, v[20:21]
	v_mov_b32_e32 v4, v23
	v_add_co_u32_e32 v2, vcc, v0, v2
	v_addc_co_u32_e32 v3, vcc, v1, v3, vcc
	global_store_dwordx2 v[2:3], v[5:6], off
	v_add_u32_e32 v6, 0x213, v43
	v_mad_u64_u32 v[11:12], s[0:1], s3, v17, v[4:5]
	v_mad_u64_u32 v[4:5], s[0:1], s2, v6, 0
	v_mov_b32_e32 v23, v11
	v_lshlrev_b64 v[2:3], 3, v[22:23]
	v_mad_u64_u32 v[5:6], s[0:1], s3, v6, v[5:6]
	v_add_u32_e32 v6, 0x29a, v43
	v_mad_u64_u32 v[11:12], s[0:1], s2, v6, 0
	v_add_co_u32_e32 v2, vcc, v0, v2
	v_addc_co_u32_e32 v3, vcc, v1, v3, vcc
	global_store_dwordx2 v[2:3], v[7:8], off
	v_lshlrev_b64 v[2:3], 3, v[4:5]
	v_mov_b32_e32 v4, v12
	v_mad_u64_u32 v[4:5], s[0:1], s3, v6, v[4:5]
	v_add_u32_e32 v6, 0x321, v43
	v_add_co_u32_e32 v2, vcc, v0, v2
	v_mov_b32_e32 v12, v4
	v_mad_u64_u32 v[4:5], s[0:1], s2, v6, 0
	v_addc_co_u32_e32 v3, vcc, v1, v3, vcc
	v_mad_u64_u32 v[5:6], s[0:1], s3, v6, v[5:6]
	v_add_u32_e32 v8, 0x3a8, v43
	global_store_dwordx2 v[2:3], v[9:10], off
	v_lshlrev_b64 v[2:3], 3, v[11:12]
	v_mad_u64_u32 v[6:7], s[0:1], s2, v8, 0
	v_add_co_u32_e32 v2, vcc, v0, v2
	v_addc_co_u32_e32 v3, vcc, v1, v3, vcc
	global_store_dwordx2 v[2:3], v[13:14], off
	v_lshlrev_b64 v[2:3], 3, v[4:5]
	v_mov_b32_e32 v4, v7
	v_mad_u64_u32 v[4:5], s[0:1], s3, v8, v[4:5]
	v_add_co_u32_e32 v2, vcc, v0, v2
	v_addc_co_u32_e32 v3, vcc, v1, v3, vcc
	v_mov_b32_e32 v7, v4
	global_store_dwordx2 v[2:3], v[15:16], off
	v_lshlrev_b64 v[2:3], 3, v[6:7]
	v_add_co_u32_e32 v0, vcc, v0, v2
	v_addc_co_u32_e32 v1, vcc, v1, v3, vcc
	global_store_dwordx2 v[0:1], v[18:19], off
.LBB0_20:
	s_endpgm
	.section	.rodata,"a",@progbits
	.p2align	6, 0x0
	.amdhsa_kernel fft_rtc_back_len945_factors_3_3_3_5_7_wgs_63_tpt_63_halfLds_sp_op_CI_CI_sbrr_dirReg
		.amdhsa_group_segment_fixed_size 0
		.amdhsa_private_segment_fixed_size 0
		.amdhsa_kernarg_size 104
		.amdhsa_user_sgpr_count 6
		.amdhsa_user_sgpr_private_segment_buffer 1
		.amdhsa_user_sgpr_dispatch_ptr 0
		.amdhsa_user_sgpr_queue_ptr 0
		.amdhsa_user_sgpr_kernarg_segment_ptr 1
		.amdhsa_user_sgpr_dispatch_id 0
		.amdhsa_user_sgpr_flat_scratch_init 0
		.amdhsa_user_sgpr_private_segment_size 0
		.amdhsa_uses_dynamic_stack 0
		.amdhsa_system_sgpr_private_segment_wavefront_offset 0
		.amdhsa_system_sgpr_workgroup_id_x 1
		.amdhsa_system_sgpr_workgroup_id_y 0
		.amdhsa_system_sgpr_workgroup_id_z 0
		.amdhsa_system_sgpr_workgroup_info 0
		.amdhsa_system_vgpr_workitem_id 0
		.amdhsa_next_free_vgpr 79
		.amdhsa_next_free_sgpr 32
		.amdhsa_reserve_vcc 1
		.amdhsa_reserve_flat_scratch 0
		.amdhsa_float_round_mode_32 0
		.amdhsa_float_round_mode_16_64 0
		.amdhsa_float_denorm_mode_32 3
		.amdhsa_float_denorm_mode_16_64 3
		.amdhsa_dx10_clamp 1
		.amdhsa_ieee_mode 1
		.amdhsa_fp16_overflow 0
		.amdhsa_exception_fp_ieee_invalid_op 0
		.amdhsa_exception_fp_denorm_src 0
		.amdhsa_exception_fp_ieee_div_zero 0
		.amdhsa_exception_fp_ieee_overflow 0
		.amdhsa_exception_fp_ieee_underflow 0
		.amdhsa_exception_fp_ieee_inexact 0
		.amdhsa_exception_int_div_zero 0
	.end_amdhsa_kernel
	.text
.Lfunc_end0:
	.size	fft_rtc_back_len945_factors_3_3_3_5_7_wgs_63_tpt_63_halfLds_sp_op_CI_CI_sbrr_dirReg, .Lfunc_end0-fft_rtc_back_len945_factors_3_3_3_5_7_wgs_63_tpt_63_halfLds_sp_op_CI_CI_sbrr_dirReg
                                        ; -- End function
	.section	.AMDGPU.csdata,"",@progbits
; Kernel info:
; codeLenInByte = 10896
; NumSgprs: 36
; NumVgprs: 79
; ScratchSize: 0
; MemoryBound: 0
; FloatMode: 240
; IeeeMode: 1
; LDSByteSize: 0 bytes/workgroup (compile time only)
; SGPRBlocks: 4
; VGPRBlocks: 19
; NumSGPRsForWavesPerEU: 36
; NumVGPRsForWavesPerEU: 79
; Occupancy: 3
; WaveLimiterHint : 1
; COMPUTE_PGM_RSRC2:SCRATCH_EN: 0
; COMPUTE_PGM_RSRC2:USER_SGPR: 6
; COMPUTE_PGM_RSRC2:TRAP_HANDLER: 0
; COMPUTE_PGM_RSRC2:TGID_X_EN: 1
; COMPUTE_PGM_RSRC2:TGID_Y_EN: 0
; COMPUTE_PGM_RSRC2:TGID_Z_EN: 0
; COMPUTE_PGM_RSRC2:TIDIG_COMP_CNT: 0
	.type	__hip_cuid_c89e053502a3e1,@object ; @__hip_cuid_c89e053502a3e1
	.section	.bss,"aw",@nobits
	.globl	__hip_cuid_c89e053502a3e1
__hip_cuid_c89e053502a3e1:
	.byte	0                               ; 0x0
	.size	__hip_cuid_c89e053502a3e1, 1

	.ident	"AMD clang version 19.0.0git (https://github.com/RadeonOpenCompute/llvm-project roc-6.4.0 25133 c7fe45cf4b819c5991fe208aaa96edf142730f1d)"
	.section	".note.GNU-stack","",@progbits
	.addrsig
	.addrsig_sym __hip_cuid_c89e053502a3e1
	.amdgpu_metadata
---
amdhsa.kernels:
  - .args:
      - .actual_access:  read_only
        .address_space:  global
        .offset:         0
        .size:           8
        .value_kind:     global_buffer
      - .offset:         8
        .size:           8
        .value_kind:     by_value
      - .actual_access:  read_only
        .address_space:  global
        .offset:         16
        .size:           8
        .value_kind:     global_buffer
      - .actual_access:  read_only
        .address_space:  global
        .offset:         24
        .size:           8
        .value_kind:     global_buffer
      - .actual_access:  read_only
        .address_space:  global
        .offset:         32
        .size:           8
        .value_kind:     global_buffer
      - .offset:         40
        .size:           8
        .value_kind:     by_value
      - .actual_access:  read_only
        .address_space:  global
        .offset:         48
        .size:           8
        .value_kind:     global_buffer
      - .actual_access:  read_only
        .address_space:  global
        .offset:         56
        .size:           8
        .value_kind:     global_buffer
      - .offset:         64
        .size:           4
        .value_kind:     by_value
      - .actual_access:  read_only
        .address_space:  global
        .offset:         72
        .size:           8
        .value_kind:     global_buffer
      - .actual_access:  read_only
        .address_space:  global
        .offset:         80
        .size:           8
        .value_kind:     global_buffer
      - .actual_access:  read_only
        .address_space:  global
        .offset:         88
        .size:           8
        .value_kind:     global_buffer
      - .actual_access:  write_only
        .address_space:  global
        .offset:         96
        .size:           8
        .value_kind:     global_buffer
    .group_segment_fixed_size: 0
    .kernarg_segment_align: 8
    .kernarg_segment_size: 104
    .language:       OpenCL C
    .language_version:
      - 2
      - 0
    .max_flat_workgroup_size: 63
    .name:           fft_rtc_back_len945_factors_3_3_3_5_7_wgs_63_tpt_63_halfLds_sp_op_CI_CI_sbrr_dirReg
    .private_segment_fixed_size: 0
    .sgpr_count:     36
    .sgpr_spill_count: 0
    .symbol:         fft_rtc_back_len945_factors_3_3_3_5_7_wgs_63_tpt_63_halfLds_sp_op_CI_CI_sbrr_dirReg.kd
    .uniform_work_group_size: 1
    .uses_dynamic_stack: false
    .vgpr_count:     79
    .vgpr_spill_count: 0
    .wavefront_size: 64
amdhsa.target:   amdgcn-amd-amdhsa--gfx906
amdhsa.version:
  - 1
  - 2
...

	.end_amdgpu_metadata
